;; amdgpu-corpus repo=ROCm/aiter kind=harvested arch=n/a opt=n/a

/root/src/amdgpu-assembly/repos/ROCm__aiter/hsa/gfx942/fmoe_2stages/fmoe_stage1_bf16_pertokenInt8_g1u1_16x256_3tg_pf2.co:	file format elf64-amdgpu

Disassembly of section .text:

0000000000002a00 <_ZN5aiter49fmoe_stage1_bf16_pertokenInt8_g1u1_16x256_3tg_pf2E>:
	s_and_b32 s1, s1, 0xffff                                   // 000000002A00: 8601FF01 0000FFFF
	s_load_dwordx2 s[8:9], s[0:1], 0x0                         // 000000002A08: C0060200 00000000
	s_load_dwordx2 s[20:21], s[0:1], 0x10                      // 000000002A10: C0060500 00000010
	s_load_dwordx2 s[24:25], s[0:1], 0x20                      // 000000002A18: C0060600 00000020
	s_load_dwordx2 s[48:49], s[0:1], 0x30                      // 000000002A20: C0060C00 00000030
	s_load_dwordx2 s[28:29], s[0:1], 0x40                      // 000000002A28: C0060700 00000040
	s_load_dwordx2 s[32:33], s[0:1], 0x50                      // 000000002A30: C0060800 00000050
	s_load_dwordx2 s[36:37], s[0:1], 0x60                      // 000000002A38: C0060900 00000060
	s_load_dwordx2 s[12:13], s[0:1], 0x70                      // 000000002A40: C0060300 00000070
	s_load_dwordx2 s[44:45], s[0:1], 0x80                      // 000000002A48: C0060B00 00000080
	s_mov_b32 s89, 0                                           // 000000002A50: BED90080
	s_load_dword s64, s[0:1], 0x90                             // 000000002A54: C0021000 00000090
	s_load_dword s65, s[0:1], 0xa0                             // 000000002A5C: C0021040 000000A0
	s_load_dword s66, s[0:1], 0xb0                             // 000000002A64: C0021080 000000B0
	s_load_dword s67, s[0:1], 0xc0                             // 000000002A6C: C00210C0 000000C0
	s_load_dword s68, s[0:1], 0xd0                             // 000000002A74: C0021100 000000D0
	s_load_dword s69, s[0:1], 0xe0                             // 000000002A7C: C0021140 000000E0
	s_load_dword s71, s[0:1], 0xf0                             // 000000002A84: C00211C0 000000F0
	s_load_dword s72, s[0:1], 0x100                            // 000000002A8C: C0021200 00000100
	s_load_dword s74, s[0:1], 0x110                            // 000000002A94: C0021280 00000110
	s_load_dword s76, s[0:1], 0x120                            // 000000002A9C: C0021300 00000120
	s_load_dword s56, s[0:1], 0x130                            // 000000002AA4: C0020E00 00000130
	s_load_dword s88, s[0:1], 0x140                            // 000000002AAC: C0021600 00000140
	s_load_dword s89, s[0:1], 0x150                            // 000000002AB4: C0021640 00000150
	v_lshrrev_b32_e32 v1, 10, v0                               // 000000002ABC: 2002008A
	v_lshrrev_b32_e32 v2, 10, v1                               // 000000002AC0: 2004028A
	v_and_b32_e32 v2, 0x3ff, v2                                // 000000002AC4: 260404FF 000003FF
	v_and_b32_e32 v1, 0x3ff, v1                                // 000000002ACC: 260202FF 000003FF
	v_and_b32_e32 v0, 0x3ff, v0                                // 000000002AD4: 260000FF 000003FF
	v_lshrrev_b32_e32 v3, 6, v0                                // 000000002ADC: 20060086
	v_and_b32_e32 v0, 63, v0                                   // 000000002AE0: 260000BF
	s_mov_b32 s2, s2                                           // 000000002AE4: BE820002
	s_mov_b32 s3, s3                                           // 000000002AE8: BE830003
	s_mov_b32 s4, s4                                           // 000000002AEC: BE840004
	v_readfirstlane_b32 s7, v3                                 // 000000002AF0: 7E0E0503
	s_waitcnt lgkmcnt(0)                                       // 000000002AF4: BF8CC07F
	s_and_b32 s49, s49, 0xffff                                 // 000000002AF8: 8631FF31 0000FFFF
	s_load_dword s48, s[48:49], 0x0                            // 000000002B00: C0020C18 00000000
	s_and_b32 s45, s45, 0xffff                                 // 000000002B08: 862DFF2D 0000FFFF
	s_and_b32 s9, s9, 0xffff                                   // 000000002B10: 8609FF09 0000FFFF
	s_mul_i32 s60, s66, s68                                    // 000000002B18: 923C4442
	s_mul_i32 s61, s66, 4                                      // 000000002B1C: 923D8442
	s_mov_b32 s22, s60                                         // 000000002B20: BE96003C
	s_mov_b32 s26, -16                                         // 000000002B24: BE9A00D0
	s_mov_b32 s30, s61                                         // 000000002B28: BE9E003D
	s_mov_b32 s14, 64                                          // 000000002B2C: BE8E00C0
	s_mov_b32 s38, -16                                         // 000000002B30: BEA600D0
	s_mov_b32 s10, -16                                         // 000000002B34: BE8A00D0
	s_mov_b32 s34, 0x400                                       // 000000002B38: BEA200FF 00000400
	s_mov_b32 s23, 0x20000                                     // 000000002B40: BE9700FF 00020000
	s_mov_b32 s27, 0x20000                                     // 000000002B48: BE9B00FF 00020000
	s_mov_b32 s31, 0x20000                                     // 000000002B50: BE9F00FF 00020000
	s_mov_b32 s35, 0x20000                                     // 000000002B58: BEA300FF 00020000
	s_mov_b32 s15, 0x20000                                     // 000000002B60: BE8F00FF 00020000
	s_mov_b32 s39, 0x20000                                     // 000000002B68: BEA700FF 00020000
	s_mov_b32 s11, 0x20000                                     // 000000002B70: BE8B00FF 00020000
	s_and_b32 s21, s21, 0xffff                                 // 000000002B78: 8615FF15 0000FFFF
	s_and_b32 s25, s25, 0xffff                                 // 000000002B80: 8619FF19 0000FFFF
	s_and_b32 s29, s29, 0xffff                                 // 000000002B88: 861DFF1D 0000FFFF
	s_and_b32 s33, s33, 0xffff                                 // 000000002B90: 8621FF21 0000FFFF
	s_and_b32 s13, s13, 0xffff                                 // 000000002B98: 860DFF0D 0000FFFF
	s_and_b32 s37, s37, 0xffff                                 // 000000002BA0: 8625FF25 0000FFFF
	s_or_b32 s21, s21, 0x40000                                 // 000000002BA8: 8715FF15 00040000
	s_or_b32 s25, s25, 0x40000                                 // 000000002BB0: 8719FF19 00040000
	s_or_b32 s29, s29, 0x40000                                 // 000000002BB8: 871DFF1D 00040000
	s_or_b32 s33, s33, 0x40000                                 // 000000002BC0: 8721FF21 00040000
	s_or_b32 s13, s13, 0x40000                                 // 000000002BC8: 870DFF0D 00040000
	s_or_b32 s37, s37, 0x40000                                 // 000000002BD0: 8725FF25 00040000
	v_accvgpr_write_b32 a79, 0                                 // 000000002BD8: D3D9404F 18000080
	v_mov_b32_e32 v71, 0                                       // 000000002BE0: 7E8E0280
	s_waitcnt lgkmcnt(0)                                       // 000000002BE4: BF8CC07F
	s_mul_i32 s60, s3, 16                                      // 000000002BE8: 923C9003
	s_cmp_lt_i32 s60, s48                                      // 000000002BEC: BF04303C
	s_cbranch_scc0 label_0BED                                  // 000000002BF0: BF840B6D
	s_mov_b32 s80, 0                                           // 000000002BF4: BED00080
	s_lshr_b32 s81, s64, s88                                   // 000000002BF8: 8F515840
	s_mul_i32 s60, s3, 4                                       // 000000002BFC: 923C8403
	s_add_u32 s44, s60, s44                                    // 000000002C00: 802C2C3C
	s_addc_u32 s45, 0, s45                                     // 000000002C04: 822D2D80
	s_load_dword s5, s[44:45], 0x0                             // 000000002C08: C0020156 00000000
	s_mul_i32 s60, s3, 16                                      // 000000002C10: 923C9003
	s_mul_i32 s60, 4, s60                                      // 000000002C14: 923C3C84
	s_add_u32 s12, s60, s12                                    // 000000002C18: 800C0C3C
	s_addc_u32 s13, 0, s13                                     // 000000002C1C: 820D0D80
	v_and_b32_e32 v4, 15, v0                                   // 000000002C20: 2608008F
	v_lshlrev_b32_e32 v4, 2, v4                                // 000000002C24: 24080882
	buffer_load_dword v28, v4, s[12:15], 0 offen               // 000000002C28: E0501000 80031C04
	v_add_u32_e32 v4, 64, v4                                   // 000000002C30: 680808C0
	s_mul_i32 s60, 4, s7                                       // 000000002C34: 923C0784
	v_lshlrev_b32_e32 v4, 4, v0                                // 000000002C38: 24080084
	v_add_u32_e32 v4, s60, v4                                  // 000000002C3C: 6808083C
	buffer_load_dword v3, v4, s[12:15], 0 offen                // 000000002C40: E0501000 80030304
	v_mov_b32_e32 v40, 0                                       // 000000002C48: 7E500280
	v_mov_b32_e32 v56, 0                                       // 000000002C4C: 7E700280
	v_mov_b32_e32 v41, 0                                       // 000000002C50: 7E520280
	v_mov_b32_e32 v57, 0                                       // 000000002C54: 7E720280
	v_mov_b32_e32 v42, 0                                       // 000000002C58: 7E540280
	v_mov_b32_e32 v58, 0                                       // 000000002C5C: 7E740280
	v_mov_b32_e32 v43, 0                                       // 000000002C60: 7E560280
	v_mov_b32_e32 v59, 0                                       // 000000002C64: 7E760280
	v_mov_b32_e32 v44, 0                                       // 000000002C68: 7E580280
	v_mov_b32_e32 v60, 0                                       // 000000002C6C: 7E780280
	v_mov_b32_e32 v45, 0                                       // 000000002C70: 7E5A0280
	v_mov_b32_e32 v61, 0                                       // 000000002C74: 7E7A0280
	v_mov_b32_e32 v46, 0                                       // 000000002C78: 7E5C0280
	v_mov_b32_e32 v62, 0                                       // 000000002C7C: 7E7C0280
	v_mov_b32_e32 v47, 0                                       // 000000002C80: 7E5E0280
	v_mov_b32_e32 v63, 0                                       // 000000002C84: 7E7E0280
	v_mov_b32_e32 v48, 0                                       // 000000002C88: 7E600280
	v_mov_b32_e32 v64, 0                                       // 000000002C8C: 7E800280
	v_mov_b32_e32 v49, 0                                       // 000000002C90: 7E620280
	v_mov_b32_e32 v65, 0                                       // 000000002C94: 7E820280
	v_mov_b32_e32 v50, 0                                       // 000000002C98: 7E640280
	v_mov_b32_e32 v66, 0                                       // 000000002C9C: 7E840280
	v_mov_b32_e32 v51, 0                                       // 000000002CA0: 7E660280
	v_mov_b32_e32 v67, 0                                       // 000000002CA4: 7E860280
	v_mov_b32_e32 v52, 0                                       // 000000002CA8: 7E680280
	v_mov_b32_e32 v68, 0                                       // 000000002CAC: 7E880280
	v_mov_b32_e32 v53, 0                                       // 000000002CB0: 7E6A0280
	v_mov_b32_e32 v69, 0                                       // 000000002CB4: 7E8A0280
	v_mov_b32_e32 v54, 0                                       // 000000002CB8: 7E6C0280
	v_mov_b32_e32 v70, 0                                       // 000000002CBC: 7E8C0280
	v_mov_b32_e32 v55, 0                                       // 000000002CC0: 7E6E0280
	v_mov_b32_e32 v71, 0                                       // 000000002CC4: 7E8E0280
	s_mul_i32 s60, s2, 0x200                                   // 000000002CC8: 923CFF02 00000200
	s_cmp_eq_u32 s88, 0                                        // 000000002CD0: BF068058
	s_cselect_b32 s61, 1, 2                                    // 000000002CD4: 853D8281
	s_mul_i32 s60, s60, s61                                    // 000000002CD8: 923C3D3C
	s_mov_b32 s90, s8                                          // 000000002CDC: BEDA0008
	s_mov_b32 s91, s9                                          // 000000002CE0: BEDB0009
	s_add_u32 s8, s60, s8                                      // 000000002CE4: 8008083C
	s_addc_u32 s9, 0, s9                                       // 000000002CE8: 82090980
	v_lshrrev_b32_e32 v4, 4, v0                                // 000000002CEC: 20080084
	v_mul_lo_u32 v20, 34, v4                                   // 000000002CF0: D2850014 000208A2
	v_and_b32_e32 v4, 15, v0                                   // 000000002CF8: 2608008F
	v_mul_lo_u32 v5, 2, v4                                     // 000000002CFC: D2850005 00020882
	v_add_u32_e32 v20, v5, v20                                 // 000000002D04: 68282905
	s_mul_i32 s60, s7, 0x88                                    // 000000002D08: 923CFF07 00000088
	v_add_u32_e32 v20, s60, v20                                // 000000002D10: 6828283C
	v_lshlrev_b32_e32 v20, 2, v20                              // 000000002D14: 24282882
	v_and_b32_e32 v4, 31, v0                                   // 000000002D18: 2608009F
	v_lshrrev_b32_e32 v4, 1, v4                                // 000000002D1C: 20080881
	v_mul_lo_u32 v21, 34, v4                                   // 000000002D20: D2850015 000208A2
	v_lshrrev_b32_e32 v4, 5, v0                                // 000000002D28: 20080085
	v_mul_lo_u32 v4, 8, v4                                     // 000000002D2C: D2850004 00020888
	v_add_u32_e32 v21, v21, v4                                 // 000000002D34: 682A0915
	v_and_b32_e32 v5, 1, v0                                    // 000000002D38: 260A0081
	v_add_u32_e32 v21, v5, v21                                 // 000000002D3C: 682A2B05
	s_mul_i32 s60, s7, 2                                       // 000000002D40: 923C8207
	v_add_u32_e32 v21, s60, v21                                // 000000002D44: 682A2A3C
	v_lshlrev_b32_e32 v21, 2, v21                              // 000000002D48: 242A2A82
	s_mul_i32 s60, s7, 0x220                                   // 000000002D4C: 923CFF07 00000220
	s_add_u32 s48, 0, s60                                      // 000000002D54: 80303C80
	s_add_u32 s49, 0x880, s48                                  // 000000002D58: 803130FF 00000880
	v_lshrrev_b32_e32 v4, 4, v0                                // 000000002D60: 20080084
	v_lshlrev_b32_e32 v5, 2, v4                                // 000000002D64: 240A0882
	v_and_b32_e32 v4, 15, v0                                   // 000000002D68: 2608008F
	v_lshrrev_b32_e32 v6, 2, v4                                // 000000002D6C: 200C0882
	v_lshlrev_b32_e32 v6, 5, v6                                // 000000002D70: 240C0C85
	v_add_u32_e32 v5, v6, v5                                   // 000000002D74: 680A0B06
	v_and_b32_e32 v4, 3, v0                                    // 000000002D78: 26080083
	v_mul_u32_u24_e32 v6, 0x88, v4                             // 000000002D7C: 100C08FF 00000088
	v_add_u32_e32 v5, v6, v5                                   // 000000002D84: 680A0B06
	v_lshlrev_b32_e32 v2, 2, v5                                // 000000002D88: 24040A82
	s_waitcnt lgkmcnt(0)                                       // 000000002D8C: BF8CC07F
	s_mul_i32 s60, s2, 0x100                                   // 000000002D90: 923CFF02 00000100
	s_mul_i32 s60, s60, s69                                    // 000000002D98: 923C453C
	s_mul_i32 s61, s5, s72                                     // 000000002D9C: 923D4805
	s_add_u32 s60, s61, s60                                    // 000000002DA0: 803C3C3D
	s_add_u32 s24, s60, s24                                    // 000000002DA4: 8018183C
	s_addc_u32 s25, 0, s25                                     // 000000002DA8: 82191980
	s_lshr_b32 s60, s64, s88                                   // 000000002DAC: 8F3C5840
	s_mul_i32 s60, s4, s60                                     // 000000002DB0: 923C3C04
	s_lshr_b32 s60, s60, 7                                     // 000000002DB4: 8F3C873C
	s_mul_i32 s60, s60, 0x800                                  // 000000002DB8: 923CFF3C 00000800
	s_add_u32 s24, s60, s24                                    // 000000002DC0: 8018183C
	s_addc_u32 s25, 0, s25                                     // 000000002DC4: 82191980
	s_lshr_b32 s60, s69, s88                                   // 000000002DC8: 8F3C5845
	s_mul_i32 s60, s4, s60                                     // 000000002DCC: 923C3C04
	s_add_u32 s20, s60, s20                                    // 000000002DD0: 8014143C
	s_addc_u32 s21, 0, s21                                     // 000000002DD4: 82151580
	s_mul_i32 s60, s7, 16                                      // 000000002DD8: 923C9007
	s_mul_i32 s60, s60, s69                                    // 000000002DDC: 923C453C
	v_lshlrev_b32_e32 v34, 4, v0                               // 000000002DE0: 24440084
	v_add_u32_e32 v34, s60, v34                                // 000000002DE4: 6844443C
	s_mul_i32 s60, 64, s69                                     // 000000002DE8: 923C45C0
	v_add_u32_e32 v35, s60, v34                                // 000000002DEC: 6846443C
	v_add_u32_e32 v36, s60, v35                                // 000000002DF0: 6848463C
	v_add_u32_e32 v37, s60, v36                                // 000000002DF4: 684A483C
	s_mov_b32 s84, s24                                         // 000000002DF8: BED40018
	s_mov_b32 s85, s25                                         // 000000002DFC: BED50019
	s_mov_b32 s86, s26                                         // 000000002E00: BED6001A
	s_mov_b32 s87, s27                                         // 000000002E04: BED7001B
	s_mul_i32 s60, s69, s65                                    // 000000002E08: 923C4145
	s_add_u32 s84, s60, s84                                    // 000000002E0C: 8054543C
	s_addc_u32 s85, 0, s85                                     // 000000002E10: 82555580
	v_lshrrev_b32_e32 v4, 4, v0                                // 000000002E14: 20080084
	v_lshlrev_b32_e32 v5, 2, v4                                // 000000002E18: 240A0882
	v_and_b32_e32 v4, 15, v0                                   // 000000002E1C: 2608008F
	v_lshrrev_b32_e32 v6, 2, v4                                // 000000002E20: 200C0882
	v_lshlrev_b32_e32 v6, 6, v6                                // 000000002E24: 240C0C86
	v_add_u32_e32 v5, v6, v5                                   // 000000002E28: 680A0B06
	v_and_b32_e32 v4, 3, v0                                    // 000000002E2C: 26080083
	v_add_u32_e32 v5, v4, v5                                   // 000000002E30: 680A0B04
	v_lshlrev_b32_e32 v22, 2, v5                               // 000000002E34: 242C0A82
	s_mul_i32 s60, s7, 16                                      // 000000002E38: 923C9007
	s_mul_i32 s60, s60, 4                                      // 000000002E3C: 923C843C
	v_add_u32_e32 v22, s60, v22                                // 000000002E40: 682C2C3C
	s_mul_i32 s60, s2, 0x100                                   // 000000002E44: 923CFF02 00000100
	s_mul_i32 s60, s60, 4                                      // 000000002E4C: 923C843C
	s_mul_i32 s61, s5, s74                                     // 000000002E50: 923D4A05
	s_add_u32 s61, s61, s60                                    // 000000002E54: 803D3C3D
	s_add_u32 s32, s61, s32                                    // 000000002E58: 8020203D
	s_addc_u32 s33, 0, s33                                     // 000000002E5C: 82212180
	s_mov_b32 s57, 0x80                                        // 000000002E60: BEB900FF 00000080
	s_mov_b32 s58, 0x800                                       // 000000002E68: BEBA00FF 00000800
	s_mov_b32 s83, s58                                         // 000000002E70: BED3003A
	s_mov_b32 s52, 0x7060302                                   // 000000002E74: BEB400FF 07060302
	s_mov_b32 s53, 0x400                                       // 000000002E7C: BEB500FF 00000400
	s_mov_b32 s54, 0x40100                                     // 000000002E84: BEB600FF 00040100
	s_mov_b32 s55, 0x4020100                                   // 000000002E8C: BEB700FF 04020100
	s_mov_b32 s6, 0x3fb8aa3b                                   // 000000002E94: BE8600FF 3FB8AA3B
	s_mov_b32 s78, 0xbd92220c                                  // 000000002E9C: BECE00FF BD92220C
	s_mov_b32 s79, 0xbd92220c                                  // 000000002EA4: BECF00FF BD92220C
	s_mov_b32 m0, s48                                          // 000000002EAC: BEFC0030
	v_mov_b32_e32 v1, 0xbfcc4231                               // 000000002EB0: 7E0202FF BFCC4231
	v_mov_b32_e32 v17, 0xffff0000                              // 000000002EB8: 7E2202FF FFFF0000
	v_mov_b32_e32 v18, 0x7fff0000                              // 000000002EC0: 7E2402FF 7FFF0000
	v_mov_b32_e32 v19, 0x7fff                                  // 000000002EC8: 7E2602FF 00007FFF
	s_waitcnt vmcnt(0) expcnt(0) lgkmcnt(0)                    // 000000002ED0: BF8C0000
	v_lshrrev_b32_e32 v4, 5, v0                                // 000000002ED4: 20080085
	v_xor_b32_e32 v5, 1, v4                                    // 000000002ED8: 2A0A0881
	v_readlane_b32 s82, v3, 0                                  // 000000002EDC: D2890052 00010103
	s_and_b32 s82, s82, 0xffffff                               // 000000002EE4: 8652FF52 00FFFFFF
	v_mul_lo_u32 v6, v5, s82                                   // 000000002EEC: D2850006 0000A505
	v_readlane_b32 s82, v3, 1                                  // 000000002EF4: D2890052 00010303
	s_and_b32 s82, s82, 0xffffff                               // 000000002EFC: 8652FF52 00FFFFFF
	v_mul_lo_u32 v7, v4, s82                                   // 000000002F04: D2850007 0000A504
	v_add_u32_e32 v32, v6, v7                                  // 000000002F0C: 68400F06
	v_mul_lo_u32 v32, v32, s68                                 // 000000002F10: D2850020 00008920
	v_readlane_b32 s82, v3, 2                                  // 000000002F18: D2890052 00010503
	s_and_b32 s82, s82, 0xffffff                               // 000000002F20: 8652FF52 00FFFFFF
	v_mul_lo_u32 v6, v5, s82                                   // 000000002F28: D2850006 0000A505
	v_readlane_b32 s82, v3, 3                                  // 000000002F30: D2890052 00010703
	s_and_b32 s82, s82, 0xffffff                               // 000000002F38: 8652FF52 00FFFFFF
	v_mul_lo_u32 v7, v4, s82                                   // 000000002F40: D2850007 0000A504
	v_add_u32_e32 v33, v6, v7                                  // 000000002F48: 68420F06
	v_mul_lo_u32 v33, v33, s68                                 // 000000002F4C: D2850021 00008921
	v_and_b32_e32 v4, 31, v0                                   // 000000002F54: 2608009F
	v_lshlrev_b32_e32 v4, 2, v4                                // 000000002F58: 24080882
	v_add_u32_e32 v32, v32, v4                                 // 000000002F5C: 68400920
	v_add_u32_e32 v33, v33, v4                                 // 000000002F60: 68420921
	v_and_b32_e32 v28, 0xffffff, v28                           // 000000002F64: 263838FF 00FFFFFF
	v_lshlrev_b32_e32 v28, 2, v28                              // 000000002F6C: 24383882
	s_lshl_b32 s3, s66, 2                                      // 000000002F70: 8E038242
	buffer_load_dword v29, v28, s[28:31], 0 offen              // 000000002F74: E0501000 80071D1C
	buffer_load_dword v24, v22, s[32:35], 0 offen              // 000000002F7C: E0501000 80081816
	s_mul_i32 s60, 4, s65                                      // 000000002F84: 923C4184
	s_add_u32 s32, s60, s32                                    // 000000002F88: 8020203C
	s_addc_u32 s33, 0, s33                                     // 000000002F8C: 82212180
	buffer_load_dword v26, v22, s[32:35], 0 offen              // 000000002F90: E0501000 80081A16
	buffer_load_dword v32, s[20:23], 0 offen lds               // 000000002F98: E0511000 80050020
	s_add_u32 m0, 0x100, s48                                   // 000000002FA0: 807C30FF 00000100
	buffer_load_dword v33, s[20:23], 0 offen lds               // 000000002FA8: E0511000 80050021
	s_add_u32 m0, 0, s49                                       // 000000002FB0: 807C3180
	s_add_u32 s20, s57, s20                                    // 000000002FB4: 80141439
	s_addc_u32 s21, 0, s21                                     // 000000002FB8: 82151580
	buffer_load_dword v32, s[20:23], 0 offen lds               // 000000002FBC: E0511000 80050020
	s_add_u32 m0, 0x100, s49                                   // 000000002FC4: 807C31FF 00000100
	buffer_load_dword v33, s[20:23], 0 offen lds               // 000000002FCC: E0511000 80050021
	s_add_u32 m0, 0, s48                                       // 000000002FD4: 807C3080
	s_add_u32 s20, s57, s20                                    // 000000002FD8: 80141439
	s_addc_u32 s21, 0, s21                                     // 000000002FDC: 82151580
	buffer_load_dwordx4 a[16:19], v34, s[24:27], 0 offen       // 000000002FE0: E05C1000 80861022
	buffer_load_dwordx4 a[20:23], v34, s[24:27], 0 offen offset:1024// 000000002FE8: E05C1400 80861422
	buffer_load_dwordx4 a[24:27], v35, s[24:27], 0 offen       // 000000002FF0: E05C1000 80861823
	buffer_load_dwordx4 a[28:31], v35, s[24:27], 0 offen offset:1024// 000000002FF8: E05C1400 80861C23
	buffer_load_dwordx4 a[32:35], v36, s[24:27], 0 offen       // 000000003000: E05C1000 80862024
	buffer_load_dwordx4 a[36:39], v36, s[24:27], 0 offen offset:1024// 000000003008: E05C1400 80862424
	buffer_load_dwordx4 a[40:43], v37, s[24:27], 0 offen       // 000000003010: E05C1000 80862825
	buffer_load_dwordx4 a[44:47], v37, s[24:27], 0 offen offset:1024// 000000003018: E05C1400 80862C25
	s_add_u32 s24, s58, s24                                    // 000000003020: 8018183A
	s_addc_u32 s25, 0, s25                                     // 000000003024: 82191980
	s_waitcnt vmcnt(10)                                        // 000000003028: BF8C0F7A
	s_barrier                                                  // 00000000302C: BF8A0000
	ds_read_b128 a[0:3], v2                                    // 000000003030: DBFE0000 00000002
	ds_read_b128 a[4:7], v2 offset:64                          // 000000003038: DBFE0040 04000002
	s_cmp_lt_i32 s7, 2                                         // 000000003040: BF048207
	s_cbranch_scc0 label_06C1                                  // 000000003044: BF84052C

0000000000003048 <label_0192>:
	s_waitcnt vmcnt(6) lgkmcnt(0)                              // 000000003048: BF8C0076
	s_barrier                                                  // 00000000304C: BF8A0000
	v_mfma_i32_16x16x32_i8 v[40:43], a[16:17], a[0:1], v[40:43]// 000000003050: D3D70028 1CA20110
	v_mfma_i32_16x16x32_i8 v[40:43], a[18:19], a[2:3], v[40:43]// 000000003058: D3D70028 1CA20512
	buffer_load_dwordx4 a[48:51], v34, s[84:87], 0 offen       // 000000003060: E05C1000 80953022
	v_mfma_i32_16x16x32_i8 v[40:43], a[20:21], a[4:5], v[40:43]// 000000003068: D3D70028 1CA20914
	v_mfma_i32_16x16x32_i8 v[40:43], a[22:23], a[6:7], v[40:43]// 000000003070: D3D70028 1CA20D16
	s_waitcnt vmcnt(5)                                         // 000000003078: BF8C0F75
	v_mfma_i32_16x16x32_i8 v[44:47], a[24:25], a[0:1], v[44:47]// 00000000307C: D3D7002C 1CB20118
	v_mfma_i32_16x16x32_i8 v[44:47], a[26:27], a[2:3], v[44:47]// 000000003084: D3D7002C 1CB2051A
	buffer_load_dwordx4 a[52:55], v34, s[84:87], 0 offen offset:1024// 00000000308C: E05C1400 80953422
	v_mfma_i32_16x16x32_i8 v[44:47], a[28:29], a[4:5], v[44:47]// 000000003094: D3D7002C 1CB2091C
	v_mfma_i32_16x16x32_i8 v[44:47], a[30:31], a[6:7], v[44:47]// 00000000309C: D3D7002C 1CB20D1E
	s_waitcnt vmcnt(4)                                         // 0000000030A4: BF8C0F74
	v_mfma_i32_16x16x32_i8 v[48:51], a[32:33], a[0:1], v[48:51]// 0000000030A8: D3D70030 1CC20120
	v_mfma_i32_16x16x32_i8 v[48:51], a[34:35], a[2:3], v[48:51]// 0000000030B0: D3D70030 1CC20522
	buffer_load_dwordx4 a[56:59], v35, s[84:87], 0 offen       // 0000000030B8: E05C1000 80953823
	v_mfma_i32_16x16x32_i8 v[48:51], a[36:37], a[4:5], v[48:51]// 0000000030C0: D3D70030 1CC20924
	v_mfma_i32_16x16x32_i8 v[48:51], a[38:39], a[6:7], v[48:51]// 0000000030C8: D3D70030 1CC20D26
	s_waitcnt vmcnt(3)                                         // 0000000030D0: BF8C0F73
	v_mfma_i32_16x16x32_i8 v[52:55], a[40:41], a[0:1], v[52:55]// 0000000030D4: D3D70034 1CD20128
	v_mfma_i32_16x16x32_i8 v[52:55], a[42:43], a[2:3], v[52:55]// 0000000030DC: D3D70034 1CD2052A
	buffer_load_dwordx4 a[60:63], v35, s[84:87], 0 offen offset:1024// 0000000030E4: E05C1400 80953C23
	s_add_u32 s60, 0x80, s80                                   // 0000000030EC: 803C50FF 00000080
	s_cmp_lt_u32 s60, s81                                      // 0000000030F4: BF0A513C
	s_cselect_b32 s83, s83, 0                                  // 0000000030F8: 85538053
	v_mfma_i32_16x16x32_i8 v[52:55], a[44:45], a[4:5], v[52:55]// 0000000030FC: D3D70034 1CD2092C
	v_mfma_i32_16x16x32_i8 v[52:55], a[46:47], a[6:7], v[52:55]// 000000003104: D3D70034 1CD20D2E
	buffer_load_dwordx4 a[64:67], v36, s[84:87], 0 offen       // 00000000310C: E05C1000 80954024
	buffer_load_dwordx4 a[68:71], v36, s[84:87], 0 offen offset:1024// 000000003114: E05C1400 80954424
	buffer_load_dwordx4 a[72:75], v37, s[84:87], 0 offen       // 00000000311C: E05C1000 80954825
	buffer_load_dwordx4 a[76:79], v37, s[84:87], 0 offen offset:1024// 000000003124: E05C1400 80954C25
	buffer_load_dword v32, s[20:23], 0 offen lds               // 00000000312C: E0511000 80050020
	s_add_u32 m0, 0x100, s48                                   // 000000003134: 807C30FF 00000100
	buffer_load_dword v33, s[20:23], 0 offen lds               // 00000000313C: E0511000 80050021
	s_add_u32 m0, 0, s49                                       // 000000003144: 807C3180
	s_waitcnt vmcnt(2)                                         // 000000003148: BF8C0F72
	v_mfma_i32_16x16x32_i8 v[56:59], a[48:49], a[0:1], v[56:59]// 00000000314C: D3D70038 1CE20130
	v_mfma_i32_16x16x32_i8 v[56:59], a[50:51], a[2:3], v[56:59]// 000000003154: D3D70038 1CE20532
	buffer_load_dwordx4 a[16:19], v34, s[24:27], 0 offen       // 00000000315C: E05C1000 80861022
	v_mfma_i32_16x16x32_i8 v[56:59], a[52:53], a[4:5], v[56:59]// 000000003164: D3D70038 1CE20934
	v_mfma_i32_16x16x32_i8 v[56:59], a[54:55], a[6:7], v[56:59]// 00000000316C: D3D70038 1CE20D36
	ds_read_b128 a[8:11], v2 offset:2176                       // 000000003174: DBFE0880 08000002
	ds_read_b128 a[12:15], v2 offset:2240                      // 00000000317C: DBFE08C0 0C000002
	v_mfma_i32_16x16x32_i8 v[60:63], a[56:57], a[0:1], v[60:63]// 000000003184: D3D7003C 1CF20138
	v_mfma_i32_16x16x32_i8 v[60:63], a[58:59], a[2:3], v[60:63]// 00000000318C: D3D7003C 1CF2053A
	buffer_load_dwordx4 a[20:23], v34, s[24:27], 0 offen offset:1024// 000000003194: E05C1400 80861422
	v_mfma_i32_16x16x32_i8 v[60:63], a[60:61], a[4:5], v[60:63]// 00000000319C: D3D7003C 1CF2093C
	v_mfma_i32_16x16x32_i8 v[60:63], a[62:63], a[6:7], v[60:63]// 0000000031A4: D3D7003C 1CF20D3E
	v_mfma_i32_16x16x32_i8 v[64:67], a[64:65], a[0:1], v[64:67]// 0000000031AC: D3D70040 1D020140
	v_mfma_i32_16x16x32_i8 v[64:67], a[66:67], a[2:3], v[64:67]// 0000000031B4: D3D70040 1D020542
	buffer_load_dwordx4 a[24:27], v35, s[24:27], 0 offen       // 0000000031BC: E05C1000 80861823
	v_mfma_i32_16x16x32_i8 v[64:67], a[68:69], a[4:5], v[64:67]// 0000000031C4: D3D70040 1D020944
	s_add_u32 s60, 0x180, s80                                  // 0000000031CC: 803C50FF 00000180
	s_cmp_lt_u32 s60, s81                                      // 0000000031D4: BF0A513C
	s_cselect_b32 s57, s57, 0                                  // 0000000031D8: 85398039
	v_mfma_i32_16x16x32_i8 v[64:67], a[70:71], a[6:7], v[64:67]// 0000000031DC: D3D70040 1D020D46
	s_add_u32 s60, 0x100, s80                                  // 0000000031E4: 803C50FF 00000100
	s_cmp_lt_u32 s60, s81                                      // 0000000031EC: BF0A513C
	s_cselect_b32 s58, s58, 0                                  // 0000000031F0: 853A803A
	v_mfma_i32_16x16x32_i8 v[68:71], a[72:73], a[0:1], v[68:71]// 0000000031F4: D3D70044 1D120148
	v_mfma_i32_16x16x32_i8 v[68:71], a[74:75], a[2:3], v[68:71]// 0000000031FC: D3D70044 1D12054A
	buffer_load_dwordx4 a[28:31], v35, s[24:27], 0 offen offset:1024// 000000003204: E05C1400 80861C23
	s_add_u32 s20, s57, s20                                    // 00000000320C: 80141439
	s_addc_u32 s21, 0, s21                                     // 000000003210: 82151580
	v_mfma_i32_16x16x32_i8 v[68:71], a[76:77], a[4:5], v[68:71]// 000000003214: D3D70044 1D12094C
	s_add_u32 s84, s83, s84                                    // 00000000321C: 80545453
	s_addc_u32 s85, 0, s85                                     // 000000003220: 82555580
	v_mfma_i32_16x16x32_i8 v[68:71], a[78:79], a[6:7], v[68:71]// 000000003224: D3D70044 1D120D4E
	buffer_load_dwordx4 a[32:35], v36, s[24:27], 0 offen       // 00000000322C: E05C1000 80862024
	buffer_load_dwordx4 a[36:39], v36, s[24:27], 0 offen offset:1024// 000000003234: E05C1400 80862424
	buffer_load_dwordx4 a[40:43], v37, s[24:27], 0 offen       // 00000000323C: E05C1000 80862825
	buffer_load_dwordx4 a[44:47], v37, s[24:27], 0 offen offset:1024// 000000003244: E05C1400 80862C25
	s_add_u32 s24, s58, s24                                    // 00000000324C: 8018183A
	s_addc_u32 s25, 0, s25                                     // 000000003250: 82191980
	s_addk_i32 s80, 0x80                                       // 000000003254: B7500080
	s_cmp_lt_i32 s80, s81                                      // 000000003258: BF045150
	s_cbranch_scc0 label_029F                                  // 00000000325C: BF840087
	s_waitcnt vmcnt(6) lgkmcnt(0)                              // 000000003260: BF8C0076
	s_barrier                                                  // 000000003264: BF8A0000
	v_mfma_i32_16x16x32_i8 v[40:43], a[16:17], a[8:9], v[40:43]// 000000003268: D3D70028 1CA21110
	v_mfma_i32_16x16x32_i8 v[40:43], a[18:19], a[10:11], v[40:43]// 000000003270: D3D70028 1CA21512
	buffer_load_dwordx4 a[48:51], v34, s[84:87], 0 offen       // 000000003278: E05C1000 80953022
	v_mfma_i32_16x16x32_i8 v[40:43], a[20:21], a[12:13], v[40:43]// 000000003280: D3D70028 1CA21914
	v_mfma_i32_16x16x32_i8 v[40:43], a[22:23], a[14:15], v[40:43]// 000000003288: D3D70028 1CA21D16
	s_waitcnt vmcnt(5)                                         // 000000003290: BF8C0F75
	v_mfma_i32_16x16x32_i8 v[44:47], a[24:25], a[8:9], v[44:47]// 000000003294: D3D7002C 1CB21118
	v_mfma_i32_16x16x32_i8 v[44:47], a[26:27], a[10:11], v[44:47]// 00000000329C: D3D7002C 1CB2151A
	buffer_load_dwordx4 a[52:55], v34, s[84:87], 0 offen offset:1024// 0000000032A4: E05C1400 80953422
	v_mfma_i32_16x16x32_i8 v[44:47], a[28:29], a[12:13], v[44:47]// 0000000032AC: D3D7002C 1CB2191C
	v_mfma_i32_16x16x32_i8 v[44:47], a[30:31], a[14:15], v[44:47]// 0000000032B4: D3D7002C 1CB21D1E
	s_waitcnt vmcnt(4)                                         // 0000000032BC: BF8C0F74
	v_mfma_i32_16x16x32_i8 v[48:51], a[32:33], a[8:9], v[48:51]// 0000000032C0: D3D70030 1CC21120
	v_mfma_i32_16x16x32_i8 v[48:51], a[34:35], a[10:11], v[48:51]// 0000000032C8: D3D70030 1CC21522
	buffer_load_dwordx4 a[56:59], v35, s[84:87], 0 offen       // 0000000032D0: E05C1000 80953823
	v_mfma_i32_16x16x32_i8 v[48:51], a[36:37], a[12:13], v[48:51]// 0000000032D8: D3D70030 1CC21924
	v_mfma_i32_16x16x32_i8 v[48:51], a[38:39], a[14:15], v[48:51]// 0000000032E0: D3D70030 1CC21D26
	s_waitcnt vmcnt(3)                                         // 0000000032E8: BF8C0F73
	v_mfma_i32_16x16x32_i8 v[52:55], a[40:41], a[8:9], v[52:55]// 0000000032EC: D3D70034 1CD21128
	v_mfma_i32_16x16x32_i8 v[52:55], a[42:43], a[10:11], v[52:55]// 0000000032F4: D3D70034 1CD2152A
	buffer_load_dwordx4 a[60:63], v35, s[84:87], 0 offen offset:1024// 0000000032FC: E05C1400 80953C23
	s_add_u32 s60, 0x80, s80                                   // 000000003304: 803C50FF 00000080
	s_cmp_lt_u32 s60, s81                                      // 00000000330C: BF0A513C
	s_cselect_b32 s83, s83, 0                                  // 000000003310: 85538053
	v_mfma_i32_16x16x32_i8 v[52:55], a[44:45], a[12:13], v[52:55]// 000000003314: D3D70034 1CD2192C
	v_mfma_i32_16x16x32_i8 v[52:55], a[46:47], a[14:15], v[52:55]// 00000000331C: D3D70034 1CD21D2E
	buffer_load_dwordx4 a[64:67], v36, s[84:87], 0 offen       // 000000003324: E05C1000 80954024
	buffer_load_dwordx4 a[68:71], v36, s[84:87], 0 offen offset:1024// 00000000332C: E05C1400 80954424
	buffer_load_dwordx4 a[72:75], v37, s[84:87], 0 offen       // 000000003334: E05C1000 80954825
	buffer_load_dwordx4 a[76:79], v37, s[84:87], 0 offen offset:1024// 00000000333C: E05C1400 80954C25
	buffer_load_dword v32, s[20:23], 0 offen lds               // 000000003344: E0511000 80050020
	s_add_u32 m0, 0x100, s49                                   // 00000000334C: 807C31FF 00000100
	buffer_load_dword v33, s[20:23], 0 offen lds               // 000000003354: E0511000 80050021
	s_add_u32 m0, 0, s48                                       // 00000000335C: 807C3080
	s_waitcnt vmcnt(2)                                         // 000000003360: BF8C0F72
	v_mfma_i32_16x16x32_i8 v[56:59], a[48:49], a[8:9], v[56:59]// 000000003364: D3D70038 1CE21130
	v_mfma_i32_16x16x32_i8 v[56:59], a[50:51], a[10:11], v[56:59]// 00000000336C: D3D70038 1CE21532
	buffer_load_dwordx4 a[16:19], v34, s[24:27], 0 offen       // 000000003374: E05C1000 80861022
	v_mfma_i32_16x16x32_i8 v[56:59], a[52:53], a[12:13], v[56:59]// 00000000337C: D3D70038 1CE21934
	v_mfma_i32_16x16x32_i8 v[56:59], a[54:55], a[14:15], v[56:59]// 000000003384: D3D70038 1CE21D36
	ds_read_b128 a[0:3], v2                                    // 00000000338C: DBFE0000 00000002
	ds_read_b128 a[4:7], v2 offset:64                          // 000000003394: DBFE0040 04000002
	v_mfma_i32_16x16x32_i8 v[60:63], a[56:57], a[8:9], v[60:63]// 00000000339C: D3D7003C 1CF21138
	v_mfma_i32_16x16x32_i8 v[60:63], a[58:59], a[10:11], v[60:63]// 0000000033A4: D3D7003C 1CF2153A
	buffer_load_dwordx4 a[20:23], v34, s[24:27], 0 offen offset:1024// 0000000033AC: E05C1400 80861422
	v_mfma_i32_16x16x32_i8 v[60:63], a[60:61], a[12:13], v[60:63]// 0000000033B4: D3D7003C 1CF2193C
	v_mfma_i32_16x16x32_i8 v[60:63], a[62:63], a[14:15], v[60:63]// 0000000033BC: D3D7003C 1CF21D3E
	v_mfma_i32_16x16x32_i8 v[64:67], a[64:65], a[8:9], v[64:67]// 0000000033C4: D3D70040 1D021140
	v_mfma_i32_16x16x32_i8 v[64:67], a[66:67], a[10:11], v[64:67]// 0000000033CC: D3D70040 1D021542
	buffer_load_dwordx4 a[24:27], v35, s[24:27], 0 offen       // 0000000033D4: E05C1000 80861823
	v_mfma_i32_16x16x32_i8 v[64:67], a[68:69], a[12:13], v[64:67]// 0000000033DC: D3D70040 1D021944
	s_add_u32 s60, 0x180, s80                                  // 0000000033E4: 803C50FF 00000180
	s_cmp_lt_u32 s60, s81                                      // 0000000033EC: BF0A513C
	s_cselect_b32 s57, s57, 0                                  // 0000000033F0: 85398039
	v_mfma_i32_16x16x32_i8 v[64:67], a[70:71], a[14:15], v[64:67]// 0000000033F4: D3D70040 1D021D46
	s_add_u32 s60, 0x100, s80                                  // 0000000033FC: 803C50FF 00000100
	s_cmp_lt_u32 s60, s81                                      // 000000003404: BF0A513C
	s_cselect_b32 s58, s58, 0                                  // 000000003408: 853A803A
	v_mfma_i32_16x16x32_i8 v[68:71], a[72:73], a[8:9], v[68:71]// 00000000340C: D3D70044 1D121148
	v_mfma_i32_16x16x32_i8 v[68:71], a[74:75], a[10:11], v[68:71]// 000000003414: D3D70044 1D12154A
	buffer_load_dwordx4 a[28:31], v35, s[24:27], 0 offen offset:1024// 00000000341C: E05C1400 80861C23
	s_add_u32 s20, s57, s20                                    // 000000003424: 80141439
	s_addc_u32 s21, 0, s21                                     // 000000003428: 82151580
	v_mfma_i32_16x16x32_i8 v[68:71], a[76:77], a[12:13], v[68:71]// 00000000342C: D3D70044 1D12194C
	s_add_u32 s84, s83, s84                                    // 000000003434: 80545453
	s_addc_u32 s85, 0, s85                                     // 000000003438: 82555580
	v_mfma_i32_16x16x32_i8 v[68:71], a[78:79], a[14:15], v[68:71]// 00000000343C: D3D70044 1D121D4E
	buffer_load_dwordx4 a[32:35], v36, s[24:27], 0 offen       // 000000003444: E05C1000 80862024
	buffer_load_dwordx4 a[36:39], v36, s[24:27], 0 offen offset:1024// 00000000344C: E05C1400 80862424
	buffer_load_dwordx4 a[40:43], v37, s[24:27], 0 offen       // 000000003454: E05C1000 80862825
	buffer_load_dwordx4 a[44:47], v37, s[24:27], 0 offen offset:1024// 00000000345C: E05C1400 80862C25
	s_add_u32 s24, s58, s24                                    // 000000003464: 8018183A
	s_addc_u32 s25, 0, s25                                     // 000000003468: 82191980
	s_addk_i32 s80, 0x80                                       // 00000000346C: B7500080
	s_cmp_lt_i32 s80, s81                                      // 000000003470: BF045150
	s_cbranch_scc0 label_029F                                  // 000000003474: BF840001
	s_branch label_0192                                        // 000000003478: BF82FEF3

000000000000347c <label_029F>:
	v_cvt_f32_i32_e32 v40, v40                                 // 00000000347C: 7E500B28
	v_cvt_f32_i32_e32 v41, v41                                 // 000000003480: 7E520B29
	v_cvt_f32_i32_e32 v42, v42                                 // 000000003484: 7E540B2A
	v_cvt_f32_i32_e32 v43, v43                                 // 000000003488: 7E560B2B
	v_mul_f32_dpp v40, v24, v40 row_newbcast:0 row_mask:0xf bank_mask:0xf// 00000000348C: 0A5050FA FF015018
	v_mul_f32_dpp v41, v24, v41 row_newbcast:1 row_mask:0xf bank_mask:0xf// 000000003494: 0A5252FA FF015118
	v_mul_f32_dpp v42, v24, v42 row_newbcast:2 row_mask:0xf bank_mask:0xf// 00000000349C: 0A5454FA FF015218
	v_mul_f32_dpp v43, v24, v43 row_newbcast:3 row_mask:0xf bank_mask:0xf// 0000000034A4: 0A5656FA FF015318
	v_cvt_f32_i32_e32 v44, v44                                 // 0000000034AC: 7E580B2C
	v_cvt_f32_i32_e32 v45, v45                                 // 0000000034B0: 7E5A0B2D
	v_cvt_f32_i32_e32 v46, v46                                 // 0000000034B4: 7E5C0B2E
	v_cvt_f32_i32_e32 v47, v47                                 // 0000000034B8: 7E5E0B2F
	v_mul_f32_dpp v44, v24, v44 row_newbcast:4 row_mask:0xf bank_mask:0xf// 0000000034BC: 0A5858FA FF015418
	v_mul_f32_dpp v45, v24, v45 row_newbcast:5 row_mask:0xf bank_mask:0xf// 0000000034C4: 0A5A5AFA FF015518
	v_mul_f32_dpp v46, v24, v46 row_newbcast:6 row_mask:0xf bank_mask:0xf// 0000000034CC: 0A5C5CFA FF015618
	v_mul_f32_dpp v47, v24, v47 row_newbcast:7 row_mask:0xf bank_mask:0xf// 0000000034D4: 0A5E5EFA FF015718
	v_cvt_f32_i32_e32 v48, v48                                 // 0000000034DC: 7E600B30
	v_cvt_f32_i32_e32 v49, v49                                 // 0000000034E0: 7E620B31
	v_cvt_f32_i32_e32 v50, v50                                 // 0000000034E4: 7E640B32
	v_cvt_f32_i32_e32 v51, v51                                 // 0000000034E8: 7E660B33
	v_mul_f32_dpp v48, v24, v48 row_newbcast:8 row_mask:0xf bank_mask:0xf// 0000000034EC: 0A6060FA FF015818
	v_mul_f32_dpp v49, v24, v49 row_newbcast:9 row_mask:0xf bank_mask:0xf// 0000000034F4: 0A6262FA FF015918
	v_mul_f32_dpp v50, v24, v50 row_newbcast:10 row_mask:0xf bank_mask:0xf// 0000000034FC: 0A6464FA FF015A18
	v_mul_f32_dpp v51, v24, v51 row_newbcast:11 row_mask:0xf bank_mask:0xf// 000000003504: 0A6666FA FF015B18
	v_cvt_f32_i32_e32 v52, v52                                 // 00000000350C: 7E680B34
	v_cvt_f32_i32_e32 v53, v53                                 // 000000003510: 7E6A0B35
	v_cvt_f32_i32_e32 v54, v54                                 // 000000003514: 7E6C0B36
	v_cvt_f32_i32_e32 v55, v55                                 // 000000003518: 7E6E0B37
	v_mul_f32_dpp v52, v24, v52 row_newbcast:12 row_mask:0xf bank_mask:0xf// 00000000351C: 0A6868FA FF015C18
	v_mul_f32_dpp v53, v24, v53 row_newbcast:13 row_mask:0xf bank_mask:0xf// 000000003524: 0A6A6AFA FF015D18
	v_mul_f32_dpp v54, v24, v54 row_newbcast:14 row_mask:0xf bank_mask:0xf// 00000000352C: 0A6C6CFA FF015E18
	v_mul_f32_dpp v55, v24, v55 row_newbcast:15 row_mask:0xf bank_mask:0xf// 000000003534: 0A6E6EFA FF015F18
	v_cvt_f32_i32_e32 v56, v56                                 // 00000000353C: 7E700B38
	v_cvt_f32_i32_e32 v57, v57                                 // 000000003540: 7E720B39
	v_cvt_f32_i32_e32 v58, v58                                 // 000000003544: 7E740B3A
	v_cvt_f32_i32_e32 v59, v59                                 // 000000003548: 7E760B3B
	v_mul_f32_dpp v56, v26, v56 row_newbcast:0 row_mask:0xf bank_mask:0xf// 00000000354C: 0A7070FA FF01501A
	v_mul_f32_dpp v57, v26, v57 row_newbcast:1 row_mask:0xf bank_mask:0xf// 000000003554: 0A7272FA FF01511A
	v_mul_f32_dpp v58, v26, v58 row_newbcast:2 row_mask:0xf bank_mask:0xf// 00000000355C: 0A7474FA FF01521A
	v_mul_f32_dpp v59, v26, v59 row_newbcast:3 row_mask:0xf bank_mask:0xf// 000000003564: 0A7676FA FF01531A
	v_cvt_f32_i32_e32 v60, v60                                 // 00000000356C: 7E780B3C
	v_cvt_f32_i32_e32 v61, v61                                 // 000000003570: 7E7A0B3D
	v_cvt_f32_i32_e32 v62, v62                                 // 000000003574: 7E7C0B3E
	v_cvt_f32_i32_e32 v63, v63                                 // 000000003578: 7E7E0B3F
	v_mul_f32_dpp v60, v26, v60 row_newbcast:4 row_mask:0xf bank_mask:0xf// 00000000357C: 0A7878FA FF01541A
	v_mul_f32_dpp v61, v26, v61 row_newbcast:5 row_mask:0xf bank_mask:0xf// 000000003584: 0A7A7AFA FF01551A
	v_mul_f32_dpp v62, v26, v62 row_newbcast:6 row_mask:0xf bank_mask:0xf// 00000000358C: 0A7C7CFA FF01561A
	v_mul_f32_dpp v63, v26, v63 row_newbcast:7 row_mask:0xf bank_mask:0xf// 000000003594: 0A7E7EFA FF01571A
	v_cvt_f32_i32_e32 v64, v64                                 // 00000000359C: 7E800B40
	v_cvt_f32_i32_e32 v65, v65                                 // 0000000035A0: 7E820B41
	v_cvt_f32_i32_e32 v66, v66                                 // 0000000035A4: 7E840B42
	v_cvt_f32_i32_e32 v67, v67                                 // 0000000035A8: 7E860B43
	v_mul_f32_dpp v64, v26, v64 row_newbcast:8 row_mask:0xf bank_mask:0xf// 0000000035AC: 0A8080FA FF01581A
	v_mul_f32_dpp v65, v26, v65 row_newbcast:9 row_mask:0xf bank_mask:0xf// 0000000035B4: 0A8282FA FF01591A
	v_mul_f32_dpp v66, v26, v66 row_newbcast:10 row_mask:0xf bank_mask:0xf// 0000000035BC: 0A8484FA FF015A1A
	v_mul_f32_dpp v67, v26, v67 row_newbcast:11 row_mask:0xf bank_mask:0xf// 0000000035C4: 0A8686FA FF015B1A
	v_cvt_f32_i32_e32 v68, v68                                 // 0000000035CC: 7E880B44
	v_cvt_f32_i32_e32 v69, v69                                 // 0000000035D0: 7E8A0B45
	v_cvt_f32_i32_e32 v70, v70                                 // 0000000035D4: 7E8C0B46
	v_cvt_f32_i32_e32 v71, v71                                 // 0000000035D8: 7E8E0B47
	v_mul_f32_dpp v68, v26, v68 row_newbcast:12 row_mask:0xf bank_mask:0xf// 0000000035DC: 0A8888FA FF015C1A
	v_mul_f32_dpp v69, v26, v69 row_newbcast:13 row_mask:0xf bank_mask:0xf// 0000000035E4: 0A8A8AFA FF015D1A
	v_mul_f32_dpp v70, v26, v70 row_newbcast:14 row_mask:0xf bank_mask:0xf// 0000000035EC: 0A8C8CFA FF015E1A
	v_mul_f32_dpp v71, v26, v71 row_newbcast:15 row_mask:0xf bank_mask:0xf// 0000000035F4: 0A8E8EFA FF015F1A
	v_mov_b32_e32 v4, v29                                      // 0000000035FC: 7E08031D
	v_mov_b32_e32 v5, v4                                       // 000000003600: 7E0A0304
	v_pk_mul_f32 v[40:41], v[4:5], v[40:41]                    // 000000003604: D3B14028 18025104
	v_pk_mul_f32 v[56:57], v[4:5], v[56:57]                    // 00000000360C: D3B14038 18027104
	v_pk_mul_f32 v[42:43], v[4:5], v[42:43]                    // 000000003614: D3B1402A 18025504
	v_pk_mul_f32 v[58:59], v[4:5], v[58:59]                    // 00000000361C: D3B1403A 18027504
	v_pk_mul_f32 v[44:45], v[4:5], v[44:45]                    // 000000003624: D3B1402C 18025904
	v_pk_mul_f32 v[60:61], v[4:5], v[60:61]                    // 00000000362C: D3B1403C 18027904
	v_pk_mul_f32 v[46:47], v[4:5], v[46:47]                    // 000000003634: D3B1402E 18025D04
	v_pk_mul_f32 v[62:63], v[4:5], v[62:63]                    // 00000000363C: D3B1403E 18027D04
	v_pk_mul_f32 v[48:49], v[4:5], v[48:49]                    // 000000003644: D3B14030 18026104
	v_pk_mul_f32 v[64:65], v[4:5], v[64:65]                    // 00000000364C: D3B14040 18028104
	v_pk_mul_f32 v[50:51], v[4:5], v[50:51]                    // 000000003654: D3B14032 18026504
	v_pk_mul_f32 v[66:67], v[4:5], v[66:67]                    // 00000000365C: D3B14042 18028504
	v_pk_mul_f32 v[52:53], v[4:5], v[52:53]                    // 000000003664: D3B14034 18026904
	v_pk_mul_f32 v[68:69], v[4:5], v[68:69]                    // 00000000366C: D3B14044 18028904
	v_pk_mul_f32 v[54:55], v[4:5], v[54:55]                    // 000000003674: D3B14036 18026D04
	v_pk_mul_f32 v[70:71], v[4:5], v[70:71]                    // 00000000367C: D3B14046 18028D04
	s_cmp_eq_u32 s88, 0                                        // 000000003684: BF068058
	s_cbranch_scc0 label_0548                                  // 000000003688: BF840225
	s_cmp_eq_u32 s89, 0                                        // 00000000368C: BF068059
	s_cbranch_scc1 label_03CA                                  // 000000003690: BF8500A5
	v_mov_b32_e32 v8, v1                                       // 000000003694: 7E100301
	v_mov_b32_e32 v9, v1                                       // 000000003698: 7E120301
	s_mov_b32 s60, s6                                          // 00000000369C: BEBC0006
	s_mov_b32 s61, s6                                          // 0000000036A0: BEBD0006
	v_pk_mul_f32 v[4:5], v[40:41], v[40:41]                    // 0000000036A4: D3B14004 18025128
	v_pk_mul_f32 v[6:7], v[42:43], v[42:43]                    // 0000000036AC: D3B14006 1802552A
	v_pk_fma_f32 v[4:5], v[4:5], s[78:79], v[8:9]              // 0000000036B4: D3B04004 1C209D04
	v_pk_fma_f32 v[6:7], v[6:7], s[78:79], v[8:9]              // 0000000036BC: D3B04006 1C209D06
	v_pk_mul_f32 v[4:5], v[4:5], v[40:41]                      // 0000000036C4: D3B14004 18025104
	v_pk_mul_f32 v[6:7], v[6:7], v[42:43]                      // 0000000036CC: D3B14006 18025506
	v_pk_mul_f32 v[4:5], v[4:5], s[60:61]                      // 0000000036D4: D3B14004 18007904
	v_pk_mul_f32 v[6:7], v[6:7], s[60:61]                      // 0000000036DC: D3B14006 18007906
	v_exp_f32_e32 v4, v4                                       // 0000000036E4: 7E084104
	v_exp_f32_e32 v5, v5                                       // 0000000036E8: 7E0A4105
	v_exp_f32_e32 v6, v6                                       // 0000000036EC: 7E0C4106
	v_exp_f32_e32 v7, v7                                       // 0000000036F0: 7E0E4107
	v_add_f32_e64 v4, v4, 1.0                                  // 0000000036F4: D1010004 0001E504
	v_add_f32_e64 v5, v5, 1.0                                  // 0000000036FC: D1010005 0001E505
	v_add_f32_e64 v6, v6, 1.0                                  // 000000003704: D1010006 0001E506
	v_add_f32_e64 v7, v7, 1.0                                  // 00000000370C: D1010007 0001E507
	v_rcp_f32_e32 v4, v4                                       // 000000003714: 7E084504
	v_rcp_f32_e32 v5, v5                                       // 000000003718: 7E0A4505
	v_rcp_f32_e32 v6, v6                                       // 00000000371C: 7E0C4506
	v_rcp_f32_e32 v7, v7                                       // 000000003720: 7E0E4507
	v_mul_f32_e32 v40, v40, v4                                 // 000000003724: 0A500928
	v_mul_f32_e32 v41, v41, v5                                 // 000000003728: 0A520B29
	v_mul_f32_e32 v42, v42, v6                                 // 00000000372C: 0A540D2A
	v_mul_f32_e32 v43, v43, v7                                 // 000000003730: 0A560F2B
	v_mul_f32_e32 v40, v40, v56                                // 000000003734: 0A507128
	v_mul_f32_e32 v41, v41, v57                                // 000000003738: 0A527329
	v_mul_f32_e32 v42, v42, v58                                // 00000000373C: 0A54752A
	v_mul_f32_e32 v43, v43, v59                                // 000000003740: 0A56772B
	v_pk_mul_f32 v[4:5], v[44:45], v[44:45]                    // 000000003744: D3B14004 1802592C
	v_pk_mul_f32 v[6:7], v[46:47], v[46:47]                    // 00000000374C: D3B14006 18025D2E
	v_pk_fma_f32 v[4:5], v[4:5], s[78:79], v[8:9]              // 000000003754: D3B04004 1C209D04
	v_pk_fma_f32 v[6:7], v[6:7], s[78:79], v[8:9]              // 00000000375C: D3B04006 1C209D06
	v_pk_mul_f32 v[4:5], v[4:5], v[44:45]                      // 000000003764: D3B14004 18025904
	v_pk_mul_f32 v[6:7], v[6:7], v[46:47]                      // 00000000376C: D3B14006 18025D06
	v_pk_mul_f32 v[4:5], v[4:5], s[60:61]                      // 000000003774: D3B14004 18007904
	v_pk_mul_f32 v[6:7], v[6:7], s[60:61]                      // 00000000377C: D3B14006 18007906
	v_exp_f32_e32 v4, v4                                       // 000000003784: 7E084104
	v_exp_f32_e32 v5, v5                                       // 000000003788: 7E0A4105
	v_exp_f32_e32 v6, v6                                       // 00000000378C: 7E0C4106
	v_exp_f32_e32 v7, v7                                       // 000000003790: 7E0E4107
	v_add_f32_e64 v4, v4, 1.0                                  // 000000003794: D1010004 0001E504
	v_add_f32_e64 v5, v5, 1.0                                  // 00000000379C: D1010005 0001E505
	v_add_f32_e64 v6, v6, 1.0                                  // 0000000037A4: D1010006 0001E506
	v_add_f32_e64 v7, v7, 1.0                                  // 0000000037AC: D1010007 0001E507
	v_rcp_f32_e32 v4, v4                                       // 0000000037B4: 7E084504
	v_rcp_f32_e32 v5, v5                                       // 0000000037B8: 7E0A4505
	v_rcp_f32_e32 v6, v6                                       // 0000000037BC: 7E0C4506
	v_rcp_f32_e32 v7, v7                                       // 0000000037C0: 7E0E4507
	v_mul_f32_e32 v44, v44, v4                                 // 0000000037C4: 0A58092C
	v_mul_f32_e32 v45, v45, v5                                 // 0000000037C8: 0A5A0B2D
	v_mul_f32_e32 v46, v46, v6                                 // 0000000037CC: 0A5C0D2E
	v_mul_f32_e32 v47, v47, v7                                 // 0000000037D0: 0A5E0F2F
	v_mul_f32_e32 v44, v44, v60                                // 0000000037D4: 0A58792C
	v_mul_f32_e32 v45, v45, v61                                // 0000000037D8: 0A5A7B2D
	v_mul_f32_e32 v46, v46, v62                                // 0000000037DC: 0A5C7D2E
	v_mul_f32_e32 v47, v47, v63                                // 0000000037E0: 0A5E7F2F
	v_pk_mul_f32 v[4:5], v[48:49], v[48:49]                    // 0000000037E4: D3B14004 18026130
	v_pk_mul_f32 v[6:7], v[50:51], v[50:51]                    // 0000000037EC: D3B14006 18026532
	v_pk_fma_f32 v[4:5], v[4:5], s[78:79], v[8:9]              // 0000000037F4: D3B04004 1C209D04
	v_pk_fma_f32 v[6:7], v[6:7], s[78:79], v[8:9]              // 0000000037FC: D3B04006 1C209D06
	v_pk_mul_f32 v[4:5], v[4:5], v[48:49]                      // 000000003804: D3B14004 18026104
	v_pk_mul_f32 v[6:7], v[6:7], v[50:51]                      // 00000000380C: D3B14006 18026506
	v_pk_mul_f32 v[4:5], v[4:5], s[60:61]                      // 000000003814: D3B14004 18007904
	v_pk_mul_f32 v[6:7], v[6:7], s[60:61]                      // 00000000381C: D3B14006 18007906
	v_exp_f32_e32 v4, v4                                       // 000000003824: 7E084104
	v_exp_f32_e32 v5, v5                                       // 000000003828: 7E0A4105
	v_exp_f32_e32 v6, v6                                       // 00000000382C: 7E0C4106
	v_exp_f32_e32 v7, v7                                       // 000000003830: 7E0E4107
	v_add_f32_e64 v4, v4, 1.0                                  // 000000003834: D1010004 0001E504
	v_add_f32_e64 v5, v5, 1.0                                  // 00000000383C: D1010005 0001E505
	v_add_f32_e64 v6, v6, 1.0                                  // 000000003844: D1010006 0001E506
	v_add_f32_e64 v7, v7, 1.0                                  // 00000000384C: D1010007 0001E507
	v_rcp_f32_e32 v4, v4                                       // 000000003854: 7E084504
	v_rcp_f32_e32 v5, v5                                       // 000000003858: 7E0A4505
	v_rcp_f32_e32 v6, v6                                       // 00000000385C: 7E0C4506
	v_rcp_f32_e32 v7, v7                                       // 000000003860: 7E0E4507
	v_mul_f32_e32 v48, v48, v4                                 // 000000003864: 0A600930
	v_mul_f32_e32 v49, v49, v5                                 // 000000003868: 0A620B31
	v_mul_f32_e32 v50, v50, v6                                 // 00000000386C: 0A640D32
	v_mul_f32_e32 v51, v51, v7                                 // 000000003870: 0A660F33
	v_mul_f32_e32 v48, v48, v64                                // 000000003874: 0A608130
	v_mul_f32_e32 v49, v49, v65                                // 000000003878: 0A628331
	v_mul_f32_e32 v50, v50, v66                                // 00000000387C: 0A648532
	v_mul_f32_e32 v51, v51, v67                                // 000000003880: 0A668733
	v_pk_mul_f32 v[4:5], v[52:53], v[52:53]                    // 000000003884: D3B14004 18026934
	v_pk_mul_f32 v[6:7], v[54:55], v[54:55]                    // 00000000388C: D3B14006 18026D36
	v_pk_fma_f32 v[4:5], v[4:5], s[78:79], v[8:9]              // 000000003894: D3B04004 1C209D04
	v_pk_fma_f32 v[6:7], v[6:7], s[78:79], v[8:9]              // 00000000389C: D3B04006 1C209D06
	v_pk_mul_f32 v[4:5], v[4:5], v[52:53]                      // 0000000038A4: D3B14004 18026904
	v_pk_mul_f32 v[6:7], v[6:7], v[54:55]                      // 0000000038AC: D3B14006 18026D06
	v_pk_mul_f32 v[4:5], v[4:5], s[60:61]                      // 0000000038B4: D3B14004 18007904
	v_pk_mul_f32 v[6:7], v[6:7], s[60:61]                      // 0000000038BC: D3B14006 18007906
	v_exp_f32_e32 v4, v4                                       // 0000000038C4: 7E084104
	v_exp_f32_e32 v5, v5                                       // 0000000038C8: 7E0A4105
	v_exp_f32_e32 v6, v6                                       // 0000000038CC: 7E0C4106
	v_exp_f32_e32 v7, v7                                       // 0000000038D0: 7E0E4107
	v_add_f32_e64 v4, v4, 1.0                                  // 0000000038D4: D1010004 0001E504
	v_add_f32_e64 v5, v5, 1.0                                  // 0000000038DC: D1010005 0001E505
	v_add_f32_e64 v6, v6, 1.0                                  // 0000000038E4: D1010006 0001E506
	v_add_f32_e64 v7, v7, 1.0                                  // 0000000038EC: D1010007 0001E507
	v_rcp_f32_e32 v4, v4                                       // 0000000038F4: 7E084504
	v_rcp_f32_e32 v5, v5                                       // 0000000038F8: 7E0A4505
	v_rcp_f32_e32 v6, v6                                       // 0000000038FC: 7E0C4506
	v_rcp_f32_e32 v7, v7                                       // 000000003900: 7E0E4507
	v_mul_f32_e32 v52, v52, v4                                 // 000000003904: 0A680934
	v_mul_f32_e32 v53, v53, v5                                 // 000000003908: 0A6A0B35
	v_mul_f32_e32 v54, v54, v6                                 // 00000000390C: 0A6C0D36
	v_mul_f32_e32 v55, v55, v7                                 // 000000003910: 0A6E0F37
	v_mul_f32_e32 v52, v52, v68                                // 000000003914: 0A688934
	v_mul_f32_e32 v53, v53, v69                                // 000000003918: 0A6A8B35
	v_mul_f32_e32 v54, v54, v70                                // 00000000391C: 0A6C8D36
	v_mul_f32_e32 v55, v55, v71                                // 000000003920: 0A6E8F37
	s_branch label_044A                                        // 000000003924: BF820080

0000000000003928 <label_03CA>:
	v_mul_f32_e64 v4, -v40, s6                                 // 000000003928: D1050004 20000D28
	v_mul_f32_e64 v5, -v41, s6                                 // 000000003930: D1050005 20000D29
	v_mul_f32_e64 v6, -v42, s6                                 // 000000003938: D1050006 20000D2A
	v_mul_f32_e64 v7, -v43, s6                                 // 000000003940: D1050007 20000D2B
	v_exp_f32_e32 v4, v4                                       // 000000003948: 7E084104
	v_exp_f32_e32 v5, v5                                       // 00000000394C: 7E0A4105
	v_exp_f32_e32 v6, v6                                       // 000000003950: 7E0C4106
	v_exp_f32_e32 v7, v7                                       // 000000003954: 7E0E4107
	v_add_f32_e64 v4, v4, 1.0                                  // 000000003958: D1010004 0001E504
	v_add_f32_e64 v5, v5, 1.0                                  // 000000003960: D1010005 0001E505
	v_add_f32_e64 v6, v6, 1.0                                  // 000000003968: D1010006 0001E506
	v_add_f32_e64 v7, v7, 1.0                                  // 000000003970: D1010007 0001E507
	v_rcp_f32_e32 v4, v4                                       // 000000003978: 7E084504
	v_rcp_f32_e32 v5, v5                                       // 00000000397C: 7E0A4505
	v_rcp_f32_e32 v6, v6                                       // 000000003980: 7E0C4506
	v_rcp_f32_e32 v7, v7                                       // 000000003984: 7E0E4507
	v_mul_f32_e32 v40, v40, v4                                 // 000000003988: 0A500928
	v_mul_f32_e32 v41, v41, v5                                 // 00000000398C: 0A520B29
	v_mul_f32_e32 v42, v42, v6                                 // 000000003990: 0A540D2A
	v_mul_f32_e32 v43, v43, v7                                 // 000000003994: 0A560F2B
	v_mul_f32_e32 v40, v40, v56                                // 000000003998: 0A507128
	v_mul_f32_e32 v41, v41, v57                                // 00000000399C: 0A527329
	v_mul_f32_e32 v42, v42, v58                                // 0000000039A0: 0A54752A
	v_mul_f32_e32 v43, v43, v59                                // 0000000039A4: 0A56772B
	v_mul_f32_e64 v4, -v44, s6                                 // 0000000039A8: D1050004 20000D2C
	v_mul_f32_e64 v5, -v45, s6                                 // 0000000039B0: D1050005 20000D2D
	v_mul_f32_e64 v6, -v46, s6                                 // 0000000039B8: D1050006 20000D2E
	v_mul_f32_e64 v7, -v47, s6                                 // 0000000039C0: D1050007 20000D2F
	v_exp_f32_e32 v4, v4                                       // 0000000039C8: 7E084104
	v_exp_f32_e32 v5, v5                                       // 0000000039CC: 7E0A4105
	v_exp_f32_e32 v6, v6                                       // 0000000039D0: 7E0C4106
	v_exp_f32_e32 v7, v7                                       // 0000000039D4: 7E0E4107
	v_add_f32_e64 v4, v4, 1.0                                  // 0000000039D8: D1010004 0001E504
	v_add_f32_e64 v5, v5, 1.0                                  // 0000000039E0: D1010005 0001E505
	v_add_f32_e64 v6, v6, 1.0                                  // 0000000039E8: D1010006 0001E506
	v_add_f32_e64 v7, v7, 1.0                                  // 0000000039F0: D1010007 0001E507
	v_rcp_f32_e32 v4, v4                                       // 0000000039F8: 7E084504
	v_rcp_f32_e32 v5, v5                                       // 0000000039FC: 7E0A4505
	v_rcp_f32_e32 v6, v6                                       // 000000003A00: 7E0C4506
	v_rcp_f32_e32 v7, v7                                       // 000000003A04: 7E0E4507
	v_mul_f32_e32 v44, v44, v4                                 // 000000003A08: 0A58092C
	v_mul_f32_e32 v45, v45, v5                                 // 000000003A0C: 0A5A0B2D
	v_mul_f32_e32 v46, v46, v6                                 // 000000003A10: 0A5C0D2E
	v_mul_f32_e32 v47, v47, v7                                 // 000000003A14: 0A5E0F2F
	v_mul_f32_e32 v44, v44, v60                                // 000000003A18: 0A58792C
	v_mul_f32_e32 v45, v45, v61                                // 000000003A1C: 0A5A7B2D
	v_mul_f32_e32 v46, v46, v62                                // 000000003A20: 0A5C7D2E
	v_mul_f32_e32 v47, v47, v63                                // 000000003A24: 0A5E7F2F
	v_mul_f32_e64 v4, -v48, s6                                 // 000000003A28: D1050004 20000D30
	v_mul_f32_e64 v5, -v49, s6                                 // 000000003A30: D1050005 20000D31
	v_mul_f32_e64 v6, -v50, s6                                 // 000000003A38: D1050006 20000D32
	v_mul_f32_e64 v7, -v51, s6                                 // 000000003A40: D1050007 20000D33
	v_exp_f32_e32 v4, v4                                       // 000000003A48: 7E084104
	v_exp_f32_e32 v5, v5                                       // 000000003A4C: 7E0A4105
	v_exp_f32_e32 v6, v6                                       // 000000003A50: 7E0C4106
	v_exp_f32_e32 v7, v7                                       // 000000003A54: 7E0E4107
	v_add_f32_e64 v4, v4, 1.0                                  // 000000003A58: D1010004 0001E504
	v_add_f32_e64 v5, v5, 1.0                                  // 000000003A60: D1010005 0001E505
	v_add_f32_e64 v6, v6, 1.0                                  // 000000003A68: D1010006 0001E506
	v_add_f32_e64 v7, v7, 1.0                                  // 000000003A70: D1010007 0001E507
	v_rcp_f32_e32 v4, v4                                       // 000000003A78: 7E084504
	v_rcp_f32_e32 v5, v5                                       // 000000003A7C: 7E0A4505
	v_rcp_f32_e32 v6, v6                                       // 000000003A80: 7E0C4506
	v_rcp_f32_e32 v7, v7                                       // 000000003A84: 7E0E4507
	v_mul_f32_e32 v48, v48, v4                                 // 000000003A88: 0A600930
	v_mul_f32_e32 v49, v49, v5                                 // 000000003A8C: 0A620B31
	v_mul_f32_e32 v50, v50, v6                                 // 000000003A90: 0A640D32
	v_mul_f32_e32 v51, v51, v7                                 // 000000003A94: 0A660F33
	v_mul_f32_e32 v48, v48, v64                                // 000000003A98: 0A608130
	v_mul_f32_e32 v49, v49, v65                                // 000000003A9C: 0A628331
	v_mul_f32_e32 v50, v50, v66                                // 000000003AA0: 0A648532
	v_mul_f32_e32 v51, v51, v67                                // 000000003AA4: 0A668733
	v_mul_f32_e64 v4, -v52, s6                                 // 000000003AA8: D1050004 20000D34
	v_mul_f32_e64 v5, -v53, s6                                 // 000000003AB0: D1050005 20000D35
	v_mul_f32_e64 v6, -v54, s6                                 // 000000003AB8: D1050006 20000D36
	v_mul_f32_e64 v7, -v55, s6                                 // 000000003AC0: D1050007 20000D37
	v_exp_f32_e32 v4, v4                                       // 000000003AC8: 7E084104
	v_exp_f32_e32 v5, v5                                       // 000000003ACC: 7E0A4105
	v_exp_f32_e32 v6, v6                                       // 000000003AD0: 7E0C4106
	v_exp_f32_e32 v7, v7                                       // 000000003AD4: 7E0E4107
	v_add_f32_e64 v4, v4, 1.0                                  // 000000003AD8: D1010004 0001E504
	v_add_f32_e64 v5, v5, 1.0                                  // 000000003AE0: D1010005 0001E505
	v_add_f32_e64 v6, v6, 1.0                                  // 000000003AE8: D1010006 0001E506
	v_add_f32_e64 v7, v7, 1.0                                  // 000000003AF0: D1010007 0001E507
	v_rcp_f32_e32 v4, v4                                       // 000000003AF8: 7E084504
	v_rcp_f32_e32 v5, v5                                       // 000000003AFC: 7E0A4505
	v_rcp_f32_e32 v6, v6                                       // 000000003B00: 7E0C4506
	v_rcp_f32_e32 v7, v7                                       // 000000003B04: 7E0E4507
	v_mul_f32_e32 v52, v52, v4                                 // 000000003B08: 0A680934
	v_mul_f32_e32 v53, v53, v5                                 // 000000003B0C: 0A6A0B35
	v_mul_f32_e32 v54, v54, v6                                 // 000000003B10: 0A6C0D36
	v_mul_f32_e32 v55, v55, v7                                 // 000000003B14: 0A6E0F37
	v_mul_f32_e32 v52, v52, v68                                // 000000003B18: 0A688934
	v_mul_f32_e32 v53, v53, v69                                // 000000003B1C: 0A6A8B35
	v_mul_f32_e32 v54, v54, v70                                // 000000003B20: 0A6C8D36
	v_mul_f32_e32 v55, v55, v71                                // 000000003B24: 0A6E8F37

0000000000003b28 <label_044A>:
	v_cmp_u_f32_e64 s[46:47], v40, v40                         // 000000003B28: D048002E 00025128
	v_add3_u32 v16, v40, v19, 1                                // 000000003B30: D1FF0010 02062728
	v_cndmask_b32_e64 v4, v16, v18, s[46:47]                   // 000000003B38: D1000004 00BA2510
	v_cmp_u_f32_e64 s[46:47], v41, v41                         // 000000003B40: D048002E 00025329
	v_add3_u32 v16, v41, v19, 1                                // 000000003B48: D1FF0010 02062729
	v_cndmask_b32_e64 v5, v16, v18, s[46:47]                   // 000000003B50: D1000005 00BA2510
	v_perm_b32 v40, v5, v4, s52                                // 000000003B58: D1ED0028 00D20905
	v_cmp_u_f32_e64 s[46:47], v42, v42                         // 000000003B60: D048002E 0002552A
	v_add3_u32 v16, v42, v19, 1                                // 000000003B68: D1FF0010 0206272A
	v_cndmask_b32_e64 v4, v16, v18, s[46:47]                   // 000000003B70: D1000004 00BA2510
	v_cmp_u_f32_e64 s[46:47], v43, v43                         // 000000003B78: D048002E 0002572B
	v_add3_u32 v16, v43, v19, 1                                // 000000003B80: D1FF0010 0206272B
	v_cndmask_b32_e64 v5, v16, v18, s[46:47]                   // 000000003B88: D1000005 00BA2510
	v_perm_b32 v41, v5, v4, s52                                // 000000003B90: D1ED0029 00D20905
	v_cmp_u_f32_e64 s[46:47], v44, v44                         // 000000003B98: D048002E 0002592C
	v_add3_u32 v16, v44, v19, 1                                // 000000003BA0: D1FF0010 0206272C
	v_cndmask_b32_e64 v4, v16, v18, s[46:47]                   // 000000003BA8: D1000004 00BA2510
	v_cmp_u_f32_e64 s[46:47], v45, v45                         // 000000003BB0: D048002E 00025B2D
	v_add3_u32 v16, v45, v19, 1                                // 000000003BB8: D1FF0010 0206272D
	v_cndmask_b32_e64 v5, v16, v18, s[46:47]                   // 000000003BC0: D1000005 00BA2510
	v_perm_b32 v42, v5, v4, s52                                // 000000003BC8: D1ED002A 00D20905
	v_cmp_u_f32_e64 s[46:47], v46, v46                         // 000000003BD0: D048002E 00025D2E
	v_add3_u32 v16, v46, v19, 1                                // 000000003BD8: D1FF0010 0206272E
	v_cndmask_b32_e64 v4, v16, v18, s[46:47]                   // 000000003BE0: D1000004 00BA2510
	v_cmp_u_f32_e64 s[46:47], v47, v47                         // 000000003BE8: D048002E 00025F2F
	v_add3_u32 v16, v47, v19, 1                                // 000000003BF0: D1FF0010 0206272F
	v_cndmask_b32_e64 v5, v16, v18, s[46:47]                   // 000000003BF8: D1000005 00BA2510
	v_perm_b32 v43, v5, v4, s52                                // 000000003C00: D1ED002B 00D20905
	v_cmp_u_f32_e64 s[46:47], v48, v48                         // 000000003C08: D048002E 00026130
	v_add3_u32 v16, v48, v19, 1                                // 000000003C10: D1FF0010 02062730
	v_cndmask_b32_e64 v4, v16, v18, s[46:47]                   // 000000003C18: D1000004 00BA2510
	v_cmp_u_f32_e64 s[46:47], v49, v49                         // 000000003C20: D048002E 00026331
	v_add3_u32 v16, v49, v19, 1                                // 000000003C28: D1FF0010 02062731
	v_cndmask_b32_e64 v5, v16, v18, s[46:47]                   // 000000003C30: D1000005 00BA2510
	v_perm_b32 v44, v5, v4, s52                                // 000000003C38: D1ED002C 00D20905
	v_cmp_u_f32_e64 s[46:47], v50, v50                         // 000000003C40: D048002E 00026532
	v_add3_u32 v16, v50, v19, 1                                // 000000003C48: D1FF0010 02062732
	v_cndmask_b32_e64 v4, v16, v18, s[46:47]                   // 000000003C50: D1000004 00BA2510
	v_cmp_u_f32_e64 s[46:47], v51, v51                         // 000000003C58: D048002E 00026733
	v_add3_u32 v16, v51, v19, 1                                // 000000003C60: D1FF0010 02062733
	v_cndmask_b32_e64 v5, v16, v18, s[46:47]                   // 000000003C68: D1000005 00BA2510
	v_perm_b32 v45, v5, v4, s52                                // 000000003C70: D1ED002D 00D20905
	v_cmp_u_f32_e64 s[46:47], v52, v52                         // 000000003C78: D048002E 00026934
	v_add3_u32 v16, v52, v19, 1                                // 000000003C80: D1FF0010 02062734
	v_cndmask_b32_e64 v4, v16, v18, s[46:47]                   // 000000003C88: D1000004 00BA2510
	v_cmp_u_f32_e64 s[46:47], v53, v53                         // 000000003C90: D048002E 00026B35
	v_add3_u32 v16, v53, v19, 1                                // 000000003C98: D1FF0010 02062735
	v_cndmask_b32_e64 v5, v16, v18, s[46:47]                   // 000000003CA0: D1000005 00BA2510
	v_perm_b32 v46, v5, v4, s52                                // 000000003CA8: D1ED002E 00D20905
	v_cmp_u_f32_e64 s[46:47], v54, v54                         // 000000003CB0: D048002E 00026D36
	v_add3_u32 v16, v54, v19, 1                                // 000000003CB8: D1FF0010 02062736
	v_cndmask_b32_e64 v4, v16, v18, s[46:47]                   // 000000003CC0: D1000004 00BA2510
	v_cmp_u_f32_e64 s[46:47], v55, v55                         // 000000003CC8: D048002E 00026F37
	v_add3_u32 v16, v55, v19, 1                                // 000000003CD0: D1FF0010 02062737
	v_cndmask_b32_e64 v5, v16, v18, s[46:47]                   // 000000003CD8: D1000005 00BA2510
	v_perm_b32 v47, v5, v4, s52                                // 000000003CE0: D1ED002F 00D20905
	ds_write_b64 v20, v[40:41]                                 // 000000003CE8: D89A0000 00002814
	ds_write_b64 v20, v[42:43] offset:2176                     // 000000003CF0: D89A0880 00002A14
	ds_write_b64 v20, v[44:45] offset:4352                     // 000000003CF8: D89A1100 00002C14
	ds_write_b64 v20, v[46:47] offset:6528                     // 000000003D00: D89A1980 00002E14
	v_lshrrev_b32_e32 v4, 5, v0                                // 000000003D08: 20080085
	v_xor_b32_e32 v5, 1, v4                                    // 000000003D0C: 2A0A0881
	s_mul_i32 s60, s65, 2                                      // 000000003D10: 923C8241
	s_cmp_eq_u32 s88, 0                                        // 000000003D14: BF068058
	s_cselect_b32 s61, 1, 4                                    // 000000003D18: 853D8481
	s_mul_i32 s60, s61, s60                                    // 000000003D1C: 923C3C3D
	v_readlane_b32 s82, v3, 0                                  // 000000003D20: D2890052 00010103
	s_lshr_b32 s61, s82, 24                                    // 000000003D28: 8F3D9852
	s_and_b32 s82, s82, 0xffffff                               // 000000003D2C: 8652FF52 00FFFFFF
	s_mul_i32 s82, s82, s71                                    // 000000003D34: 92524752
	s_mul_i32 s61, s60, s61                                    // 000000003D38: 923D3D3C
	s_add_u32 s82, s82, s61                                    // 000000003D3C: 80523D52
	v_mul_lo_u32 v6, v5, s82                                   // 000000003D40: D2850006 0000A505
	v_readlane_b32 s82, v3, 1                                  // 000000003D48: D2890052 00010303
	s_lshr_b32 s61, s82, 24                                    // 000000003D50: 8F3D9852
	s_and_b32 s82, s82, 0xffffff                               // 000000003D54: 8652FF52 00FFFFFF
	s_mul_i32 s82, s82, s71                                    // 000000003D5C: 92524752
	s_mul_i32 s61, s60, s61                                    // 000000003D60: 923D3D3C
	s_add_u32 s82, s82, s61                                    // 000000003D64: 80523D52
	v_mul_lo_u32 v7, v4, s82                                   // 000000003D68: D2850007 0000A504
	v_add_u32_e32 v32, v6, v7                                  // 000000003D70: 68400F06
	v_readlane_b32 s82, v3, 2                                  // 000000003D74: D2890052 00010503
	s_lshr_b32 s61, s82, 24                                    // 000000003D7C: 8F3D9852
	s_and_b32 s82, s82, 0xffffff                               // 000000003D80: 8652FF52 00FFFFFF
	s_mul_i32 s82, s82, s71                                    // 000000003D88: 92524752
	s_mul_i32 s61, s60, s61                                    // 000000003D8C: 923D3D3C
	s_add_u32 s82, s82, s61                                    // 000000003D90: 80523D52
	v_mul_lo_u32 v6, v5, s82                                   // 000000003D94: D2850006 0000A505
	v_readlane_b32 s82, v3, 3                                  // 000000003D9C: D2890052 00010703
	s_lshr_b32 s61, s82, 24                                    // 000000003DA4: 8F3D9852
	s_and_b32 s82, s82, 0xffffff                               // 000000003DA8: 8652FF52 00FFFFFF
	s_mul_i32 s82, s82, s71                                    // 000000003DB0: 92524752
	s_mul_i32 s61, s60, s61                                    // 000000003DB4: 923D3D3C
	s_add_u32 s82, s82, s61                                    // 000000003DB8: 80523D52
	v_mul_lo_u32 v7, v4, s82                                   // 000000003DBC: D2850007 0000A504
	v_add_u32_e32 v33, v6, v7                                  // 000000003DC4: 68420F06
	v_and_b32_e32 v4, 31, v0                                   // 000000003DC8: 2608009F
	v_lshrrev_b32_e32 v4, 1, v4                                // 000000003DCC: 20080881
	s_cmp_eq_u32 s88, 0                                        // 000000003DD0: BF068058
	s_cselect_b32 s61, 2, 4                                    // 000000003DD4: 853D8482
	v_mul_lo_u32 v4, v4, s61                                   // 000000003DD8: D2850004 00007B04
	v_and_b32_e64 v5, v0, 1                                    // 000000003DE0: D1130005 00010300
	v_add_u32_e32 v4, v4, v5                                   // 000000003DE8: 68080B04
	v_lshlrev_b32_e32 v4, 2, v4                                // 000000003DEC: 24080882
	v_add_u32_e32 v32, v32, v4                                 // 000000003DF0: 68400920
	v_add_u32_e32 v33, v33, v4                                 // 000000003DF4: 68420921
	s_waitcnt lgkmcnt(0)                                       // 000000003DF8: BF8CC07F
	s_barrier                                                  // 000000003DFC: BF8A0000
	ds_read_b32 v40, v21                                       // 000000003E00: D86C0000 28000015
	ds_read_b32 v41, v21 offset:64                             // 000000003E08: D86C0040 29000015
	ds_read_b32 v42, v21 offset:2176                           // 000000003E10: D86C0880 2A000015
	ds_read_b32 v43, v21 offset:2240                           // 000000003E18: D86C08C0 2B000015
	ds_read_b32 v44, v21 offset:4352                           // 000000003E20: D86C1100 2C000015
	ds_read_b32 v45, v21 offset:4416                           // 000000003E28: D86C1140 2D000015
	ds_read_b32 v46, v21 offset:6528                           // 000000003E30: D86C1980 2E000015
	ds_read_b32 v47, v21 offset:6592                           // 000000003E38: D86C19C0 2F000015
	s_waitcnt lgkmcnt(0)                                       // 000000003E40: BF8CC07F
	s_mov_b32 s36, -1                                          // 000000003E44: BEA400C1
	s_mov_b32 s37, -1                                          // 000000003E48: BEA500C1
	v_mov_b32_e32 v7, 0                                        // 000000003E4C: 7E0E0280
	s_or_b32 s9, s9, 0x40000                                   // 000000003E50: 8709FF09 00040000
	s_mov_b64 exec, s[36:37]                                   // 000000003E58: BEFE0124
	v_mov_b32_e32 v6, v32                                      // 000000003E5C: 7E0C0320
	s_mov_b64 s[60:61], 0                                      // 000000003E60: BEBC0180
	v_readlane_b32 s82, v3, 0                                  // 000000003E64: D2890052 00010103
	s_and_b32 s82, s82, 0xffffff                               // 000000003E6C: 8652FF52 00FFFFFF
	s_cmp_lt_u32 s82, s66                                      // 000000003E74: BF0A4252
	s_cselect_b32 s20, s36, s60                                // 000000003E78: 85143C24
	v_readlane_b32 s82, v3, 1                                  // 000000003E7C: D2890052 00010303
	s_and_b32 s82, s82, 0xffffff                               // 000000003E84: 8652FF52 00FFFFFF
	s_cmp_lt_u32 s82, s66                                      // 000000003E8C: BF0A4252
	s_cselect_b32 s21, s36, s60                                // 000000003E90: 85153C24
	s_mov_b64 exec, s[20:21]                                   // 000000003E94: BEFE0114
	buffer_store_dword v40, v6, s[8:11], 0 offen               // 000000003E98: E0701000 80022806
	buffer_store_dword v42, v6, s[8:11], 0 offen offset:128    // 000000003EA0: E0701080 80022A06
	buffer_store_dword v44, v6, s[8:11], 0 offen offset:256    // 000000003EA8: E0701100 80022C06
	buffer_store_dword v46, v6, s[8:11], 0 offen offset:384    // 000000003EB0: E0701180 80022E06
	s_mov_b64 exec, s[36:37]                                   // 000000003EB8: BEFE0124
	v_mov_b32_e32 v6, v33                                      // 000000003EBC: 7E0C0321
	s_mov_b64 s[60:61], 0                                      // 000000003EC0: BEBC0180
	v_readlane_b32 s82, v3, 2                                  // 000000003EC4: D2890052 00010503
	s_and_b32 s82, s82, 0xffffff                               // 000000003ECC: 8652FF52 00FFFFFF
	s_cmp_lt_u32 s82, s66                                      // 000000003ED4: BF0A4252
	s_cselect_b32 s20, s36, s60                                // 000000003ED8: 85143C24
	v_readlane_b32 s82, v3, 3                                  // 000000003EDC: D2890052 00010703
	s_and_b32 s82, s82, 0xffffff                               // 000000003EE4: 8652FF52 00FFFFFF
	s_cmp_lt_u32 s82, s66                                      // 000000003EEC: BF0A4252
	s_cselect_b32 s21, s36, s60                                // 000000003EF0: 85153C24
	s_mov_b64 exec, s[20:21]                                   // 000000003EF4: BEFE0114
	buffer_store_dword v41, v6, s[8:11], 0 offen               // 000000003EF8: E0701000 80022906
	buffer_store_dword v43, v6, s[8:11], 0 offen offset:128    // 000000003F00: E0701080 80022B06
	buffer_store_dword v45, v6, s[8:11], 0 offen offset:256    // 000000003F08: E0701100 80022D06
	buffer_store_dword v47, v6, s[8:11], 0 offen offset:384    // 000000003F10: E0701180 80022F06
	s_mov_b64 exec, s[36:37]                                   // 000000003F18: BEFE0124
	s_branch label_0BED                                        // 000000003F1C: BF8206A2

0000000000003f20 <label_0548>:
	ds_write_b64 v20, v[40:41]                                 // 000000003F20: D89A0000 00002814
	ds_write_b64 v20, v[44:45] offset:2176                     // 000000003F28: D89A0880 00002C14
	ds_write_b64 v20, v[48:49] offset:4352                     // 000000003F30: D89A1100 00003014
	ds_write_b64 v20, v[52:53] offset:6528                     // 000000003F38: D89A1980 00003414
	v_lshrrev_b32_e32 v4, 5, v0                                // 000000003F40: 20080085
	v_xor_b32_e32 v5, 1, v4                                    // 000000003F44: 2A0A0881
	s_mul_i32 s60, s65, 2                                      // 000000003F48: 923C8241
	s_cmp_eq_u32 s88, 0                                        // 000000003F4C: BF068058
	s_cselect_b32 s61, 1, 4                                    // 000000003F50: 853D8481
	s_mul_i32 s60, s61, s60                                    // 000000003F54: 923C3C3D
	v_readlane_b32 s82, v3, 0                                  // 000000003F58: D2890052 00010103
	s_lshr_b32 s61, s82, 24                                    // 000000003F60: 8F3D9852
	s_and_b32 s82, s82, 0xffffff                               // 000000003F64: 8652FF52 00FFFFFF
	s_mul_i32 s82, s82, s71                                    // 000000003F6C: 92524752
	s_mul_i32 s61, s60, s61                                    // 000000003F70: 923D3D3C
	s_add_u32 s82, s82, s61                                    // 000000003F74: 80523D52
	v_mul_lo_u32 v6, v5, s82                                   // 000000003F78: D2850006 0000A505
	v_readlane_b32 s82, v3, 1                                  // 000000003F80: D2890052 00010303
	s_lshr_b32 s61, s82, 24                                    // 000000003F88: 8F3D9852
	s_and_b32 s82, s82, 0xffffff                               // 000000003F8C: 8652FF52 00FFFFFF
	s_mul_i32 s82, s82, s71                                    // 000000003F94: 92524752
	s_mul_i32 s61, s60, s61                                    // 000000003F98: 923D3D3C
	s_add_u32 s82, s82, s61                                    // 000000003F9C: 80523D52
	v_mul_lo_u32 v7, v4, s82                                   // 000000003FA0: D2850007 0000A504
	v_add_u32_e32 v32, v6, v7                                  // 000000003FA8: 68400F06
	v_readlane_b32 s82, v3, 2                                  // 000000003FAC: D2890052 00010503
	s_lshr_b32 s61, s82, 24                                    // 000000003FB4: 8F3D9852
	s_and_b32 s82, s82, 0xffffff                               // 000000003FB8: 8652FF52 00FFFFFF
	s_mul_i32 s82, s82, s71                                    // 000000003FC0: 92524752
	s_mul_i32 s61, s60, s61                                    // 000000003FC4: 923D3D3C
	s_add_u32 s82, s82, s61                                    // 000000003FC8: 80523D52
	v_mul_lo_u32 v6, v5, s82                                   // 000000003FCC: D2850006 0000A505
	v_readlane_b32 s82, v3, 3                                  // 000000003FD4: D2890052 00010703
	s_lshr_b32 s61, s82, 24                                    // 000000003FDC: 8F3D9852
	s_and_b32 s82, s82, 0xffffff                               // 000000003FE0: 8652FF52 00FFFFFF
	s_mul_i32 s82, s82, s71                                    // 000000003FE8: 92524752
	s_mul_i32 s61, s60, s61                                    // 000000003FEC: 923D3D3C
	s_add_u32 s82, s82, s61                                    // 000000003FF0: 80523D52
	v_mul_lo_u32 v7, v4, s82                                   // 000000003FF4: D2850007 0000A504
	v_add_u32_e32 v33, v6, v7                                  // 000000003FFC: 68420F06
	v_and_b32_e32 v4, 31, v0                                   // 000000004000: 2608009F
	v_lshrrev_b32_e32 v4, 1, v4                                // 000000004004: 20080881
	s_cmp_eq_u32 s88, 0                                        // 000000004008: BF068058
	s_cselect_b32 s61, 2, 4                                    // 00000000400C: 853D8482
	v_mul_lo_u32 v4, v4, s61                                   // 000000004010: D2850004 00007B04
	v_and_b32_e64 v5, v0, 1                                    // 000000004018: D1130005 00010300
	v_add_u32_e32 v4, v4, v5                                   // 000000004020: 68080B04
	v_lshlrev_b32_e32 v4, 2, v4                                // 000000004024: 24080882
	v_add_u32_e32 v32, v32, v4                                 // 000000004028: 68400920
	v_add_u32_e32 v33, v33, v4                                 // 00000000402C: 68420921
	s_waitcnt lgkmcnt(0)                                       // 000000004030: BF8CC07F
	s_barrier                                                  // 000000004034: BF8A0000
	ds_read_b32 v40, v21                                       // 000000004038: D86C0000 28000015
	ds_read_b32 v41, v21 offset:64                             // 000000004040: D86C0040 29000015
	ds_read_b32 v44, v21 offset:2176                           // 000000004048: D86C0880 2C000015
	ds_read_b32 v45, v21 offset:2240                           // 000000004050: D86C08C0 2D000015
	ds_read_b32 v48, v21 offset:4352                           // 000000004058: D86C1100 30000015
	ds_read_b32 v49, v21 offset:4416                           // 000000004060: D86C1140 31000015
	ds_read_b32 v52, v21 offset:6528                           // 000000004068: D86C1980 34000015
	ds_read_b32 v53, v21 offset:6592                           // 000000004070: D86C19C0 35000015
	s_waitcnt lgkmcnt(0)                                       // 000000004078: BF8CC07F
	s_mov_b32 s36, -1                                          // 00000000407C: BEA400C1
	s_mov_b32 s37, -1                                          // 000000004080: BEA500C1
	v_mov_b32_e32 v7, 0                                        // 000000004084: 7E0E0280
	s_mov_b64 exec, s[36:37]                                   // 000000004088: BEFE0124
	v_mov_b32_e32 v6, v32                                      // 00000000408C: 7E0C0320
	s_mov_b64 s[60:61], 0                                      // 000000004090: BEBC0180
	v_readlane_b32 s82, v3, 0                                  // 000000004094: D2890052 00010103
	s_and_b32 s82, s82, 0xffffff                               // 00000000409C: 8652FF52 00FFFFFF
	s_cmp_lt_u32 s82, s66                                      // 0000000040A4: BF0A4252
	s_cselect_b32 s20, s36, s60                                // 0000000040A8: 85143C24
	v_readlane_b32 s82, v3, 1                                  // 0000000040AC: D2890052 00010303
	s_and_b32 s82, s82, 0xffffff                               // 0000000040B4: 8652FF52 00FFFFFF
	s_cmp_lt_u32 s82, s66                                      // 0000000040BC: BF0A4252
	s_cselect_b32 s21, s36, s60                                // 0000000040C0: 85153C24
	s_mov_b64 exec, s[20:21]                                   // 0000000040C4: BEFE0114
	global_atomic_add_f32 v6, v40, s[8:9]                      // 0000000040C8: DD348000 00082806
	global_atomic_add_f32 v6, v44, s[8:9] offset:256           // 0000000040D0: DD348100 00082C06
	global_atomic_add_f32 v6, v48, s[8:9] offset:512           // 0000000040D8: DD348200 00083006
	global_atomic_add_f32 v6, v52, s[8:9] offset:768           // 0000000040E0: DD348300 00083406
	s_mov_b64 exec, s[36:37]                                   // 0000000040E8: BEFE0124
	v_mov_b32_e32 v6, v33                                      // 0000000040EC: 7E0C0321
	s_mov_b64 s[60:61], 0                                      // 0000000040F0: BEBC0180
	v_readlane_b32 s82, v3, 2                                  // 0000000040F4: D2890052 00010503
	s_and_b32 s82, s82, 0xffffff                               // 0000000040FC: 8652FF52 00FFFFFF
	s_cmp_lt_u32 s82, s66                                      // 000000004104: BF0A4252
	s_cselect_b32 s20, s36, s60                                // 000000004108: 85143C24
	v_readlane_b32 s82, v3, 3                                  // 00000000410C: D2890052 00010703
	s_and_b32 s82, s82, 0xffffff                               // 000000004114: 8652FF52 00FFFFFF
	s_cmp_lt_u32 s82, s66                                      // 00000000411C: BF0A4252
	s_cselect_b32 s21, s36, s60                                // 000000004120: 85153C24
	s_mov_b64 exec, s[20:21]                                   // 000000004124: BEFE0114
	global_atomic_add_f32 v6, v41, s[8:9]                      // 000000004128: DD348000 00082906
	global_atomic_add_f32 v6, v45, s[8:9] offset:256           // 000000004130: DD348100 00082D06
	global_atomic_add_f32 v6, v49, s[8:9] offset:512           // 000000004138: DD348200 00083106
	global_atomic_add_f32 v6, v53, s[8:9] offset:768           // 000000004140: DD348300 00083506
	s_mov_b64 exec, s[36:37]                                   // 000000004148: BEFE0124
	ds_write_b64 v20, v[42:43]                                 // 00000000414C: D89A0000 00002A14
	ds_write_b64 v20, v[46:47] offset:2176                     // 000000004154: D89A0880 00002E14
	ds_write_b64 v20, v[50:51] offset:4352                     // 00000000415C: D89A1100 00003214
	ds_write_b64 v20, v[54:55] offset:6528                     // 000000004164: D89A1980 00003614
	s_waitcnt lgkmcnt(0)                                       // 00000000416C: BF8CC07F
	s_barrier                                                  // 000000004170: BF8A0000
	ds_read_b32 v42, v21                                       // 000000004174: D86C0000 2A000015
	ds_read_b32 v43, v21 offset:64                             // 00000000417C: D86C0040 2B000015
	ds_read_b32 v46, v21 offset:2176                           // 000000004184: D86C0880 2E000015
	ds_read_b32 v47, v21 offset:2240                           // 00000000418C: D86C08C0 2F000015
	ds_read_b32 v50, v21 offset:4352                           // 000000004194: D86C1100 32000015
	ds_read_b32 v51, v21 offset:4416                           // 00000000419C: D86C1140 33000015
	ds_read_b32 v54, v21 offset:6528                           // 0000000041A4: D86C1980 36000015
	ds_read_b32 v55, v21 offset:6592                           // 0000000041AC: D86C19C0 37000015
	s_waitcnt lgkmcnt(0)                                       // 0000000041B4: BF8CC07F
	v_mov_b32_e32 v7, 0                                        // 0000000041B8: 7E0E0280
	s_mov_b64 exec, s[36:37]                                   // 0000000041BC: BEFE0124
	v_mov_b32_e32 v6, v32                                      // 0000000041C0: 7E0C0320
	s_mov_b64 s[60:61], 0                                      // 0000000041C4: BEBC0180
	v_readlane_b32 s82, v3, 0                                  // 0000000041C8: D2890052 00010103
	s_and_b32 s82, s82, 0xffffff                               // 0000000041D0: 8652FF52 00FFFFFF
	s_cmp_lt_u32 s82, s66                                      // 0000000041D8: BF0A4252
	s_cselect_b32 s20, s36, s60                                // 0000000041DC: 85143C24
	v_readlane_b32 s82, v3, 1                                  // 0000000041E0: D2890052 00010303
	s_and_b32 s82, s82, 0xffffff                               // 0000000041E8: 8652FF52 00FFFFFF
	s_cmp_lt_u32 s82, s66                                      // 0000000041F0: BF0A4252
	s_cselect_b32 s21, s36, s60                                // 0000000041F4: 85153C24
	s_mov_b64 exec, s[20:21]                                   // 0000000041F8: BEFE0114
	global_atomic_add_f32 v6, v42, s[8:9] offset:8             // 0000000041FC: DD348008 00082A06
	global_atomic_add_f32 v6, v46, s[8:9] offset:264           // 000000004204: DD348108 00082E06
	global_atomic_add_f32 v6, v50, s[8:9] offset:520           // 00000000420C: DD348208 00083206
	global_atomic_add_f32 v6, v54, s[8:9] offset:776           // 000000004214: DD348308 00083606
	s_mov_b64 exec, s[36:37]                                   // 00000000421C: BEFE0124
	v_mov_b32_e32 v6, v33                                      // 000000004220: 7E0C0321
	s_mov_b64 s[60:61], 0                                      // 000000004224: BEBC0180
	v_readlane_b32 s82, v3, 2                                  // 000000004228: D2890052 00010503
	s_and_b32 s82, s82, 0xffffff                               // 000000004230: 8652FF52 00FFFFFF
	s_cmp_lt_u32 s82, s66                                      // 000000004238: BF0A4252
	s_cselect_b32 s20, s36, s60                                // 00000000423C: 85143C24
	v_readlane_b32 s82, v3, 3                                  // 000000004240: D2890052 00010703
	s_and_b32 s82, s82, 0xffffff                               // 000000004248: 8652FF52 00FFFFFF
	s_cmp_lt_u32 s82, s66                                      // 000000004250: BF0A4252
	s_cselect_b32 s21, s36, s60                                // 000000004254: 85153C24
	s_mov_b64 exec, s[20:21]                                   // 000000004258: BEFE0114
	global_atomic_add_f32 v6, v43, s[8:9] offset:8             // 00000000425C: DD348008 00082B06
	global_atomic_add_f32 v6, v47, s[8:9] offset:264           // 000000004264: DD348108 00082F06
	global_atomic_add_f32 v6, v51, s[8:9] offset:520           // 00000000426C: DD348208 00083306
	global_atomic_add_f32 v6, v55, s[8:9] offset:776           // 000000004274: DD348308 00083706
	s_mov_b64 exec, s[36:37]                                   // 00000000427C: BEFE0124
	ds_write_b64 v20, v[56:57]                                 // 000000004280: D89A0000 00003814
	ds_write_b64 v20, v[60:61] offset:2176                     // 000000004288: D89A0880 00003C14
	ds_write_b64 v20, v[64:65] offset:4352                     // 000000004290: D89A1100 00004014
	ds_write_b64 v20, v[68:69] offset:6528                     // 000000004298: D89A1980 00004414
	s_waitcnt lgkmcnt(0)                                       // 0000000042A0: BF8CC07F
	s_barrier                                                  // 0000000042A4: BF8A0000
	ds_read_b32 v56, v21                                       // 0000000042A8: D86C0000 38000015
	ds_read_b32 v57, v21 offset:64                             // 0000000042B0: D86C0040 39000015
	ds_read_b32 v60, v21 offset:2176                           // 0000000042B8: D86C0880 3C000015
	ds_read_b32 v61, v21 offset:2240                           // 0000000042C0: D86C08C0 3D000015
	ds_read_b32 v64, v21 offset:4352                           // 0000000042C8: D86C1100 40000015
	ds_read_b32 v65, v21 offset:4416                           // 0000000042D0: D86C1140 41000015
	ds_read_b32 v68, v21 offset:6528                           // 0000000042D8: D86C1980 44000015
	ds_read_b32 v69, v21 offset:6592                           // 0000000042E0: D86C19C0 45000015
	s_mul_i32 s60, s65, 4                                      // 0000000042E8: 923C8441
	s_add_u32 s8, s60, s8                                      // 0000000042EC: 8008083C
	s_addc_u32 s9, 0, s9                                       // 0000000042F0: 82090980
	s_waitcnt lgkmcnt(0)                                       // 0000000042F4: BF8CC07F
	v_mov_b32_e32 v7, 0                                        // 0000000042F8: 7E0E0280
	s_mov_b64 exec, s[36:37]                                   // 0000000042FC: BEFE0124
	v_mov_b32_e32 v6, v32                                      // 000000004300: 7E0C0320
	s_mov_b64 s[60:61], 0                                      // 000000004304: BEBC0180
	v_readlane_b32 s82, v3, 0                                  // 000000004308: D2890052 00010103
	s_and_b32 s82, s82, 0xffffff                               // 000000004310: 8652FF52 00FFFFFF
	s_cmp_lt_u32 s82, s66                                      // 000000004318: BF0A4252
	s_cselect_b32 s20, s36, s60                                // 00000000431C: 85143C24
	v_readlane_b32 s82, v3, 1                                  // 000000004320: D2890052 00010303
	s_and_b32 s82, s82, 0xffffff                               // 000000004328: 8652FF52 00FFFFFF
	s_cmp_lt_u32 s82, s66                                      // 000000004330: BF0A4252
	s_cselect_b32 s21, s36, s60                                // 000000004334: 85153C24
	s_mov_b64 exec, s[20:21]                                   // 000000004338: BEFE0114
	global_atomic_add_f32 v6, v56, s[8:9]                      // 00000000433C: DD348000 00083806
	global_atomic_add_f32 v6, v60, s[8:9] offset:256           // 000000004344: DD348100 00083C06
	global_atomic_add_f32 v6, v64, s[8:9] offset:512           // 00000000434C: DD348200 00084006
	global_atomic_add_f32 v6, v68, s[8:9] offset:768           // 000000004354: DD348300 00084406
	s_mov_b64 exec, s[36:37]                                   // 00000000435C: BEFE0124
	v_mov_b32_e32 v6, v33                                      // 000000004360: 7E0C0321
	s_mov_b64 s[60:61], 0                                      // 000000004364: BEBC0180
	v_readlane_b32 s82, v3, 2                                  // 000000004368: D2890052 00010503
	s_and_b32 s82, s82, 0xffffff                               // 000000004370: 8652FF52 00FFFFFF
	s_cmp_lt_u32 s82, s66                                      // 000000004378: BF0A4252
	s_cselect_b32 s20, s36, s60                                // 00000000437C: 85143C24
	v_readlane_b32 s82, v3, 3                                  // 000000004380: D2890052 00010703
	s_and_b32 s82, s82, 0xffffff                               // 000000004388: 8652FF52 00FFFFFF
	s_cmp_lt_u32 s82, s66                                      // 000000004390: BF0A4252
	s_cselect_b32 s21, s36, s60                                // 000000004394: 85153C24
	s_mov_b64 exec, s[20:21]                                   // 000000004398: BEFE0114
	global_atomic_add_f32 v6, v57, s[8:9]                      // 00000000439C: DD348000 00083906
	global_atomic_add_f32 v6, v61, s[8:9] offset:256           // 0000000043A4: DD348100 00083D06
	global_atomic_add_f32 v6, v65, s[8:9] offset:512           // 0000000043AC: DD348200 00084106
	global_atomic_add_f32 v6, v69, s[8:9] offset:768           // 0000000043B4: DD348300 00084506
	s_mov_b64 exec, s[36:37]                                   // 0000000043BC: BEFE0124
	ds_write_b64 v20, v[58:59]                                 // 0000000043C0: D89A0000 00003A14
	ds_write_b64 v20, v[62:63] offset:2176                     // 0000000043C8: D89A0880 00003E14
	ds_write_b64 v20, v[66:67] offset:4352                     // 0000000043D0: D89A1100 00004214
	ds_write_b64 v20, v[70:71] offset:6528                     // 0000000043D8: D89A1980 00004614
	s_waitcnt lgkmcnt(0)                                       // 0000000043E0: BF8CC07F
	s_barrier                                                  // 0000000043E4: BF8A0000
	ds_read_b32 v58, v21                                       // 0000000043E8: D86C0000 3A000015
	ds_read_b32 v59, v21 offset:64                             // 0000000043F0: D86C0040 3B000015
	ds_read_b32 v62, v21 offset:2176                           // 0000000043F8: D86C0880 3E000015
	ds_read_b32 v63, v21 offset:2240                           // 000000004400: D86C08C0 3F000015
	ds_read_b32 v66, v21 offset:4352                           // 000000004408: D86C1100 42000015
	ds_read_b32 v67, v21 offset:4416                           // 000000004410: D86C1140 43000015
	ds_read_b32 v70, v21 offset:6528                           // 000000004418: D86C1980 46000015
	ds_read_b32 v71, v21 offset:6592                           // 000000004420: D86C19C0 47000015
	s_waitcnt lgkmcnt(0)                                       // 000000004428: BF8CC07F
	v_mov_b32_e32 v7, 0                                        // 00000000442C: 7E0E0280
	s_mov_b64 exec, s[36:37]                                   // 000000004430: BEFE0124
	v_mov_b32_e32 v6, v32                                      // 000000004434: 7E0C0320
	s_mov_b64 s[60:61], 0                                      // 000000004438: BEBC0180
	v_readlane_b32 s82, v3, 0                                  // 00000000443C: D2890052 00010103
	s_and_b32 s82, s82, 0xffffff                               // 000000004444: 8652FF52 00FFFFFF
	s_cmp_lt_u32 s82, s66                                      // 00000000444C: BF0A4252
	s_cselect_b32 s20, s36, s60                                // 000000004450: 85143C24
	v_readlane_b32 s82, v3, 1                                  // 000000004454: D2890052 00010303
	s_and_b32 s82, s82, 0xffffff                               // 00000000445C: 8652FF52 00FFFFFF
	s_cmp_lt_u32 s82, s66                                      // 000000004464: BF0A4252
	s_cselect_b32 s21, s36, s60                                // 000000004468: 85153C24
	s_mov_b64 exec, s[20:21]                                   // 00000000446C: BEFE0114
	global_atomic_add_f32 v6, v58, s[8:9] offset:8             // 000000004470: DD348008 00083A06
	global_atomic_add_f32 v6, v62, s[8:9] offset:264           // 000000004478: DD348108 00083E06
	global_atomic_add_f32 v6, v66, s[8:9] offset:520           // 000000004480: DD348208 00084206
	global_atomic_add_f32 v6, v70, s[8:9] offset:776           // 000000004488: DD348308 00084606
	s_mov_b64 exec, s[36:37]                                   // 000000004490: BEFE0124
	v_mov_b32_e32 v6, v33                                      // 000000004494: 7E0C0321
	s_mov_b64 s[60:61], 0                                      // 000000004498: BEBC0180
	v_readlane_b32 s82, v3, 2                                  // 00000000449C: D2890052 00010503
	s_and_b32 s82, s82, 0xffffff                               // 0000000044A4: 8652FF52 00FFFFFF
	s_cmp_lt_u32 s82, s66                                      // 0000000044AC: BF0A4252
	s_cselect_b32 s20, s36, s60                                // 0000000044B0: 85143C24
	v_readlane_b32 s82, v3, 3                                  // 0000000044B4: D2890052 00010703
	s_and_b32 s82, s82, 0xffffff                               // 0000000044BC: 8652FF52 00FFFFFF
	s_cmp_lt_u32 s82, s66                                      // 0000000044C4: BF0A4252
	s_cselect_b32 s21, s36, s60                                // 0000000044C8: 85153C24
	s_mov_b64 exec, s[20:21]                                   // 0000000044CC: BEFE0114
	global_atomic_add_f32 v6, v59, s[8:9] offset:8             // 0000000044D0: DD348008 00083B06
	global_atomic_add_f32 v6, v63, s[8:9] offset:264           // 0000000044D8: DD348108 00083F06
	global_atomic_add_f32 v6, v67, s[8:9] offset:520           // 0000000044E0: DD348208 00084306
	global_atomic_add_f32 v6, v71, s[8:9] offset:776           // 0000000044E8: DD348308 00084706
	s_mov_b64 exec, s[36:37]                                   // 0000000044F0: BEFE0124
	s_branch label_0BED                                        // 0000000044F4: BF82052C

00000000000044f8 <label_06C1>:
	s_waitcnt vmcnt(6) lgkmcnt(0)                              // 0000000044F8: BF8C0076
	s_barrier                                                  // 0000000044FC: BF8A0000
	v_mfma_i32_16x16x32_i8 v[40:43], a[16:17], a[0:1], v[40:43]// 000000004500: D3D70028 1CA20110
	buffer_load_dwordx4 a[48:51], v34, s[84:87], 0 offen       // 000000004508: E05C1000 80953022
	v_mfma_i32_16x16x32_i8 v[40:43], a[18:19], a[2:3], v[40:43]// 000000004510: D3D70028 1CA20512
	v_mfma_i32_16x16x32_i8 v[40:43], a[20:21], a[4:5], v[40:43]// 000000004518: D3D70028 1CA20914
	v_mfma_i32_16x16x32_i8 v[40:43], a[22:23], a[6:7], v[40:43]// 000000004520: D3D70028 1CA20D16
	s_waitcnt vmcnt(5)                                         // 000000004528: BF8C0F75
	v_mfma_i32_16x16x32_i8 v[44:47], a[24:25], a[0:1], v[44:47]// 00000000452C: D3D7002C 1CB20118
	buffer_load_dwordx4 a[52:55], v34, s[84:87], 0 offen offset:1024// 000000004534: E05C1400 80953422
	v_mfma_i32_16x16x32_i8 v[44:47], a[26:27], a[2:3], v[44:47]// 00000000453C: D3D7002C 1CB2051A
	v_mfma_i32_16x16x32_i8 v[44:47], a[28:29], a[4:5], v[44:47]// 000000004544: D3D7002C 1CB2091C
	v_mfma_i32_16x16x32_i8 v[44:47], a[30:31], a[6:7], v[44:47]// 00000000454C: D3D7002C 1CB20D1E
	s_waitcnt vmcnt(4)                                         // 000000004554: BF8C0F74
	v_mfma_i32_16x16x32_i8 v[48:51], a[32:33], a[0:1], v[48:51]// 000000004558: D3D70030 1CC20120
	buffer_load_dwordx4 a[56:59], v35, s[84:87], 0 offen       // 000000004560: E05C1000 80953823
	v_mfma_i32_16x16x32_i8 v[48:51], a[34:35], a[2:3], v[48:51]// 000000004568: D3D70030 1CC20522
	v_mfma_i32_16x16x32_i8 v[48:51], a[36:37], a[4:5], v[48:51]// 000000004570: D3D70030 1CC20924
	v_mfma_i32_16x16x32_i8 v[48:51], a[38:39], a[6:7], v[48:51]// 000000004578: D3D70030 1CC20D26
	s_waitcnt vmcnt(3)                                         // 000000004580: BF8C0F73
	v_mfma_i32_16x16x32_i8 v[52:55], a[40:41], a[0:1], v[52:55]// 000000004584: D3D70034 1CD20128
	buffer_load_dwordx4 a[60:63], v35, s[84:87], 0 offen offset:1024// 00000000458C: E05C1400 80953C23
	v_mfma_i32_16x16x32_i8 v[52:55], a[42:43], a[2:3], v[52:55]// 000000004594: D3D70034 1CD2052A
	s_add_u32 s60, 0x80, s80                                   // 00000000459C: 803C50FF 00000080
	s_cmp_lt_u32 s60, s81                                      // 0000000045A4: BF0A513C
	s_cselect_b32 s83, s83, 0                                  // 0000000045A8: 85538053
	v_mfma_i32_16x16x32_i8 v[52:55], a[44:45], a[4:5], v[52:55]// 0000000045AC: D3D70034 1CD2092C
	v_mfma_i32_16x16x32_i8 v[52:55], a[46:47], a[6:7], v[52:55]// 0000000045B4: D3D70034 1CD20D2E
	buffer_load_dwordx4 a[64:67], v36, s[84:87], 0 offen       // 0000000045BC: E05C1000 80954024
	buffer_load_dwordx4 a[68:71], v36, s[84:87], 0 offen offset:1024// 0000000045C4: E05C1400 80954424
	buffer_load_dwordx4 a[72:75], v37, s[84:87], 0 offen       // 0000000045CC: E05C1000 80954825
	buffer_load_dwordx4 a[76:79], v37, s[84:87], 0 offen offset:1024// 0000000045D4: E05C1400 80954C25
	buffer_load_dword v32, s[20:23], 0 offen lds               // 0000000045DC: E0511000 80050020
	s_add_u32 m0, 0x100, s48                                   // 0000000045E4: 807C30FF 00000100
	buffer_load_dword v33, s[20:23], 0 offen lds               // 0000000045EC: E0511000 80050021
	s_add_u32 m0, 0, s49                                       // 0000000045F4: 807C3180
	s_waitcnt vmcnt(2)                                         // 0000000045F8: BF8C0F72
	v_mfma_i32_16x16x32_i8 v[56:59], a[48:49], a[0:1], v[56:59]// 0000000045FC: D3D70038 1CE20130
	buffer_load_dwordx4 a[16:19], v34, s[24:27], 0 offen       // 000000004604: E05C1000 80861022
	v_mfma_i32_16x16x32_i8 v[56:59], a[50:51], a[2:3], v[56:59]// 00000000460C: D3D70038 1CE20532
	v_mfma_i32_16x16x32_i8 v[56:59], a[52:53], a[4:5], v[56:59]// 000000004614: D3D70038 1CE20934
	ds_read_b128 a[8:11], v2 offset:2176                       // 00000000461C: DBFE0880 08000002
	ds_read_b128 a[12:15], v2 offset:2240                      // 000000004624: DBFE08C0 0C000002
	v_mfma_i32_16x16x32_i8 v[56:59], a[54:55], a[6:7], v[56:59]// 00000000462C: D3D70038 1CE20D36
	v_mfma_i32_16x16x32_i8 v[60:63], a[56:57], a[0:1], v[60:63]// 000000004634: D3D7003C 1CF20138
	buffer_load_dwordx4 a[20:23], v34, s[24:27], 0 offen offset:1024// 00000000463C: E05C1400 80861422
	v_mfma_i32_16x16x32_i8 v[60:63], a[58:59], a[2:3], v[60:63]// 000000004644: D3D7003C 1CF2053A
	v_mfma_i32_16x16x32_i8 v[60:63], a[60:61], a[4:5], v[60:63]// 00000000464C: D3D7003C 1CF2093C
	v_mfma_i32_16x16x32_i8 v[60:63], a[62:63], a[6:7], v[60:63]// 000000004654: D3D7003C 1CF20D3E
	v_mfma_i32_16x16x32_i8 v[64:67], a[64:65], a[0:1], v[64:67]// 00000000465C: D3D70040 1D020140
	buffer_load_dwordx4 a[24:27], v35, s[24:27], 0 offen       // 000000004664: E05C1000 80861823
	v_mfma_i32_16x16x32_i8 v[64:67], a[66:67], a[2:3], v[64:67]// 00000000466C: D3D70040 1D020542
	v_mfma_i32_16x16x32_i8 v[64:67], a[68:69], a[4:5], v[64:67]// 000000004674: D3D70040 1D020944
	s_add_u32 s60, 0x180, s80                                  // 00000000467C: 803C50FF 00000180
	s_cmp_lt_u32 s60, s81                                      // 000000004684: BF0A513C
	s_cselect_b32 s57, s57, 0                                  // 000000004688: 85398039
	v_mfma_i32_16x16x32_i8 v[64:67], a[70:71], a[6:7], v[64:67]// 00000000468C: D3D70040 1D020D46
	s_add_u32 s60, 0x100, s80                                  // 000000004694: 803C50FF 00000100
	s_cmp_lt_u32 s60, s81                                      // 00000000469C: BF0A513C
	s_cselect_b32 s58, s58, 0                                  // 0000000046A0: 853A803A
	v_mfma_i32_16x16x32_i8 v[68:71], a[72:73], a[0:1], v[68:71]// 0000000046A4: D3D70044 1D120148
	buffer_load_dwordx4 a[28:31], v35, s[24:27], 0 offen offset:1024// 0000000046AC: E05C1400 80861C23
	v_mfma_i32_16x16x32_i8 v[68:71], a[74:75], a[2:3], v[68:71]// 0000000046B4: D3D70044 1D12054A
	s_add_u32 s20, s57, s20                                    // 0000000046BC: 80141439
	s_addc_u32 s21, 0, s21                                     // 0000000046C0: 82151580
	v_mfma_i32_16x16x32_i8 v[68:71], a[76:77], a[4:5], v[68:71]// 0000000046C4: D3D70044 1D12094C
	s_add_u32 s84, s83, s84                                    // 0000000046CC: 80545453
	s_addc_u32 s85, 0, s85                                     // 0000000046D0: 82555580
	v_mfma_i32_16x16x32_i8 v[68:71], a[78:79], a[6:7], v[68:71]// 0000000046D4: D3D70044 1D120D4E
	buffer_load_dwordx4 a[32:35], v36, s[24:27], 0 offen       // 0000000046DC: E05C1000 80862024
	buffer_load_dwordx4 a[36:39], v36, s[24:27], 0 offen offset:1024// 0000000046E4: E05C1400 80862424
	buffer_load_dwordx4 a[40:43], v37, s[24:27], 0 offen       // 0000000046EC: E05C1000 80862825
	buffer_load_dwordx4 a[44:47], v37, s[24:27], 0 offen offset:1024// 0000000046F4: E05C1400 80862C25
	s_add_u32 s24, s58, s24                                    // 0000000046FC: 8018183A
	s_addc_u32 s25, 0, s25                                     // 000000004700: 82191980
	s_addk_i32 s80, 0x80                                       // 000000004704: B7500080
	s_cmp_lt_i32 s80, s81                                      // 000000004708: BF045150
	s_cbranch_scc0 label_07CE                                  // 00000000470C: BF840087
	s_waitcnt vmcnt(6) lgkmcnt(0)                              // 000000004710: BF8C0076
	s_barrier                                                  // 000000004714: BF8A0000
	v_mfma_i32_16x16x32_i8 v[40:43], a[16:17], a[8:9], v[40:43]// 000000004718: D3D70028 1CA21110
	buffer_load_dwordx4 a[48:51], v34, s[84:87], 0 offen       // 000000004720: E05C1000 80953022
	v_mfma_i32_16x16x32_i8 v[40:43], a[18:19], a[10:11], v[40:43]// 000000004728: D3D70028 1CA21512
	v_mfma_i32_16x16x32_i8 v[40:43], a[20:21], a[12:13], v[40:43]// 000000004730: D3D70028 1CA21914
	v_mfma_i32_16x16x32_i8 v[40:43], a[22:23], a[14:15], v[40:43]// 000000004738: D3D70028 1CA21D16
	s_waitcnt vmcnt(5)                                         // 000000004740: BF8C0F75
	v_mfma_i32_16x16x32_i8 v[44:47], a[24:25], a[8:9], v[44:47]// 000000004744: D3D7002C 1CB21118
	buffer_load_dwordx4 a[52:55], v34, s[84:87], 0 offen offset:1024// 00000000474C: E05C1400 80953422
	v_mfma_i32_16x16x32_i8 v[44:47], a[26:27], a[10:11], v[44:47]// 000000004754: D3D7002C 1CB2151A
	v_mfma_i32_16x16x32_i8 v[44:47], a[28:29], a[12:13], v[44:47]// 00000000475C: D3D7002C 1CB2191C
	v_mfma_i32_16x16x32_i8 v[44:47], a[30:31], a[14:15], v[44:47]// 000000004764: D3D7002C 1CB21D1E
	s_waitcnt vmcnt(4)                                         // 00000000476C: BF8C0F74
	v_mfma_i32_16x16x32_i8 v[48:51], a[32:33], a[8:9], v[48:51]// 000000004770: D3D70030 1CC21120
	buffer_load_dwordx4 a[56:59], v35, s[84:87], 0 offen       // 000000004778: E05C1000 80953823
	v_mfma_i32_16x16x32_i8 v[48:51], a[34:35], a[10:11], v[48:51]// 000000004780: D3D70030 1CC21522
	v_mfma_i32_16x16x32_i8 v[48:51], a[36:37], a[12:13], v[48:51]// 000000004788: D3D70030 1CC21924
	v_mfma_i32_16x16x32_i8 v[48:51], a[38:39], a[14:15], v[48:51]// 000000004790: D3D70030 1CC21D26
	s_waitcnt vmcnt(3)                                         // 000000004798: BF8C0F73
	v_mfma_i32_16x16x32_i8 v[52:55], a[40:41], a[8:9], v[52:55]// 00000000479C: D3D70034 1CD21128
	buffer_load_dwordx4 a[60:63], v35, s[84:87], 0 offen offset:1024// 0000000047A4: E05C1400 80953C23
	v_mfma_i32_16x16x32_i8 v[52:55], a[42:43], a[10:11], v[52:55]// 0000000047AC: D3D70034 1CD2152A
	s_add_u32 s60, 0x80, s80                                   // 0000000047B4: 803C50FF 00000080
	s_cmp_lt_u32 s60, s81                                      // 0000000047BC: BF0A513C
	s_cselect_b32 s83, s83, 0                                  // 0000000047C0: 85538053
	v_mfma_i32_16x16x32_i8 v[52:55], a[44:45], a[12:13], v[52:55]// 0000000047C4: D3D70034 1CD2192C
	v_mfma_i32_16x16x32_i8 v[52:55], a[46:47], a[14:15], v[52:55]// 0000000047CC: D3D70034 1CD21D2E
	buffer_load_dwordx4 a[64:67], v36, s[84:87], 0 offen       // 0000000047D4: E05C1000 80954024
	buffer_load_dwordx4 a[68:71], v36, s[84:87], 0 offen offset:1024// 0000000047DC: E05C1400 80954424
	buffer_load_dwordx4 a[72:75], v37, s[84:87], 0 offen       // 0000000047E4: E05C1000 80954825
	buffer_load_dwordx4 a[76:79], v37, s[84:87], 0 offen offset:1024// 0000000047EC: E05C1400 80954C25
	buffer_load_dword v32, s[20:23], 0 offen lds               // 0000000047F4: E0511000 80050020
	s_add_u32 m0, 0x100, s49                                   // 0000000047FC: 807C31FF 00000100
	buffer_load_dword v33, s[20:23], 0 offen lds               // 000000004804: E0511000 80050021
	s_add_u32 m0, 0, s48                                       // 00000000480C: 807C3080
	s_waitcnt vmcnt(2)                                         // 000000004810: BF8C0F72
	v_mfma_i32_16x16x32_i8 v[56:59], a[48:49], a[8:9], v[56:59]// 000000004814: D3D70038 1CE21130
	buffer_load_dwordx4 a[16:19], v34, s[24:27], 0 offen       // 00000000481C: E05C1000 80861022
	v_mfma_i32_16x16x32_i8 v[56:59], a[50:51], a[10:11], v[56:59]// 000000004824: D3D70038 1CE21532
	v_mfma_i32_16x16x32_i8 v[56:59], a[52:53], a[12:13], v[56:59]// 00000000482C: D3D70038 1CE21934
	ds_read_b128 a[0:3], v2                                    // 000000004834: DBFE0000 00000002
	ds_read_b128 a[4:7], v2 offset:64                          // 00000000483C: DBFE0040 04000002
	v_mfma_i32_16x16x32_i8 v[56:59], a[54:55], a[14:15], v[56:59]// 000000004844: D3D70038 1CE21D36
	v_mfma_i32_16x16x32_i8 v[60:63], a[56:57], a[8:9], v[60:63]// 00000000484C: D3D7003C 1CF21138
	buffer_load_dwordx4 a[20:23], v34, s[24:27], 0 offen offset:1024// 000000004854: E05C1400 80861422
	v_mfma_i32_16x16x32_i8 v[60:63], a[58:59], a[10:11], v[60:63]// 00000000485C: D3D7003C 1CF2153A
	v_mfma_i32_16x16x32_i8 v[60:63], a[60:61], a[12:13], v[60:63]// 000000004864: D3D7003C 1CF2193C
	v_mfma_i32_16x16x32_i8 v[60:63], a[62:63], a[14:15], v[60:63]// 00000000486C: D3D7003C 1CF21D3E
	v_mfma_i32_16x16x32_i8 v[64:67], a[64:65], a[8:9], v[64:67]// 000000004874: D3D70040 1D021140
	buffer_load_dwordx4 a[24:27], v35, s[24:27], 0 offen       // 00000000487C: E05C1000 80861823
	v_mfma_i32_16x16x32_i8 v[64:67], a[66:67], a[10:11], v[64:67]// 000000004884: D3D70040 1D021542
	v_mfma_i32_16x16x32_i8 v[64:67], a[68:69], a[12:13], v[64:67]// 00000000488C: D3D70040 1D021944
	s_add_u32 s60, 0x180, s80                                  // 000000004894: 803C50FF 00000180
	s_cmp_lt_u32 s60, s81                                      // 00000000489C: BF0A513C
	s_cselect_b32 s57, s57, 0                                  // 0000000048A0: 85398039
	v_mfma_i32_16x16x32_i8 v[64:67], a[70:71], a[14:15], v[64:67]// 0000000048A4: D3D70040 1D021D46
	s_add_u32 s60, 0x100, s80                                  // 0000000048AC: 803C50FF 00000100
	s_cmp_lt_u32 s60, s81                                      // 0000000048B4: BF0A513C
	s_cselect_b32 s58, s58, 0                                  // 0000000048B8: 853A803A
	v_mfma_i32_16x16x32_i8 v[68:71], a[72:73], a[8:9], v[68:71]// 0000000048BC: D3D70044 1D121148
	buffer_load_dwordx4 a[28:31], v35, s[24:27], 0 offen offset:1024// 0000000048C4: E05C1400 80861C23
	v_mfma_i32_16x16x32_i8 v[68:71], a[74:75], a[10:11], v[68:71]// 0000000048CC: D3D70044 1D12154A
	s_add_u32 s20, s57, s20                                    // 0000000048D4: 80141439
	s_addc_u32 s21, 0, s21                                     // 0000000048D8: 82151580
	v_mfma_i32_16x16x32_i8 v[68:71], a[76:77], a[12:13], v[68:71]// 0000000048DC: D3D70044 1D12194C
	s_add_u32 s84, s83, s84                                    // 0000000048E4: 80545453
	s_addc_u32 s85, 0, s85                                     // 0000000048E8: 82555580
	v_mfma_i32_16x16x32_i8 v[68:71], a[78:79], a[14:15], v[68:71]// 0000000048EC: D3D70044 1D121D4E
	buffer_load_dwordx4 a[32:35], v36, s[24:27], 0 offen       // 0000000048F4: E05C1000 80862024
	buffer_load_dwordx4 a[36:39], v36, s[24:27], 0 offen offset:1024// 0000000048FC: E05C1400 80862424
	buffer_load_dwordx4 a[40:43], v37, s[24:27], 0 offen       // 000000004904: E05C1000 80862825
	buffer_load_dwordx4 a[44:47], v37, s[24:27], 0 offen offset:1024// 00000000490C: E05C1400 80862C25
	s_add_u32 s24, s58, s24                                    // 000000004914: 8018183A
	s_addc_u32 s25, 0, s25                                     // 000000004918: 82191980
	s_addk_i32 s80, 0x80                                       // 00000000491C: B7500080
	s_cmp_lt_i32 s80, s81                                      // 000000004920: BF045150
	s_cbranch_scc0 label_07CE                                  // 000000004924: BF840001
	s_branch label_06C1                                        // 000000004928: BF82FEF3

000000000000492c <label_07CE>:
	v_cvt_f32_i32_e32 v40, v40                                 // 00000000492C: 7E500B28
	v_cvt_f32_i32_e32 v41, v41                                 // 000000004930: 7E520B29
	v_cvt_f32_i32_e32 v42, v42                                 // 000000004934: 7E540B2A
	v_cvt_f32_i32_e32 v43, v43                                 // 000000004938: 7E560B2B
	v_mul_f32_dpp v40, v24, v40 row_newbcast:0 row_mask:0xf bank_mask:0xf// 00000000493C: 0A5050FA FF015018
	v_mul_f32_dpp v41, v24, v41 row_newbcast:1 row_mask:0xf bank_mask:0xf// 000000004944: 0A5252FA FF015118
	v_mul_f32_dpp v42, v24, v42 row_newbcast:2 row_mask:0xf bank_mask:0xf// 00000000494C: 0A5454FA FF015218
	v_mul_f32_dpp v43, v24, v43 row_newbcast:3 row_mask:0xf bank_mask:0xf// 000000004954: 0A5656FA FF015318
	v_cvt_f32_i32_e32 v44, v44                                 // 00000000495C: 7E580B2C
	v_cvt_f32_i32_e32 v45, v45                                 // 000000004960: 7E5A0B2D
	v_cvt_f32_i32_e32 v46, v46                                 // 000000004964: 7E5C0B2E
	v_cvt_f32_i32_e32 v47, v47                                 // 000000004968: 7E5E0B2F
	v_mul_f32_dpp v44, v24, v44 row_newbcast:4 row_mask:0xf bank_mask:0xf// 00000000496C: 0A5858FA FF015418
	v_mul_f32_dpp v45, v24, v45 row_newbcast:5 row_mask:0xf bank_mask:0xf// 000000004974: 0A5A5AFA FF015518
	v_mul_f32_dpp v46, v24, v46 row_newbcast:6 row_mask:0xf bank_mask:0xf// 00000000497C: 0A5C5CFA FF015618
	v_mul_f32_dpp v47, v24, v47 row_newbcast:7 row_mask:0xf bank_mask:0xf// 000000004984: 0A5E5EFA FF015718
	v_cvt_f32_i32_e32 v48, v48                                 // 00000000498C: 7E600B30
	v_cvt_f32_i32_e32 v49, v49                                 // 000000004990: 7E620B31
	v_cvt_f32_i32_e32 v50, v50                                 // 000000004994: 7E640B32
	v_cvt_f32_i32_e32 v51, v51                                 // 000000004998: 7E660B33
	v_mul_f32_dpp v48, v24, v48 row_newbcast:8 row_mask:0xf bank_mask:0xf// 00000000499C: 0A6060FA FF015818
	v_mul_f32_dpp v49, v24, v49 row_newbcast:9 row_mask:0xf bank_mask:0xf// 0000000049A4: 0A6262FA FF015918
	v_mul_f32_dpp v50, v24, v50 row_newbcast:10 row_mask:0xf bank_mask:0xf// 0000000049AC: 0A6464FA FF015A18
	v_mul_f32_dpp v51, v24, v51 row_newbcast:11 row_mask:0xf bank_mask:0xf// 0000000049B4: 0A6666FA FF015B18
	v_cvt_f32_i32_e32 v52, v52                                 // 0000000049BC: 7E680B34
	v_cvt_f32_i32_e32 v53, v53                                 // 0000000049C0: 7E6A0B35
	v_cvt_f32_i32_e32 v54, v54                                 // 0000000049C4: 7E6C0B36
	v_cvt_f32_i32_e32 v55, v55                                 // 0000000049C8: 7E6E0B37
	v_mul_f32_dpp v52, v24, v52 row_newbcast:12 row_mask:0xf bank_mask:0xf// 0000000049CC: 0A6868FA FF015C18
	v_mul_f32_dpp v53, v24, v53 row_newbcast:13 row_mask:0xf bank_mask:0xf// 0000000049D4: 0A6A6AFA FF015D18
	v_mul_f32_dpp v54, v24, v54 row_newbcast:14 row_mask:0xf bank_mask:0xf// 0000000049DC: 0A6C6CFA FF015E18
	v_mul_f32_dpp v55, v24, v55 row_newbcast:15 row_mask:0xf bank_mask:0xf// 0000000049E4: 0A6E6EFA FF015F18
	v_cvt_f32_i32_e32 v56, v56                                 // 0000000049EC: 7E700B38
	v_cvt_f32_i32_e32 v57, v57                                 // 0000000049F0: 7E720B39
	v_cvt_f32_i32_e32 v58, v58                                 // 0000000049F4: 7E740B3A
	v_cvt_f32_i32_e32 v59, v59                                 // 0000000049F8: 7E760B3B
	v_mul_f32_dpp v56, v26, v56 row_newbcast:0 row_mask:0xf bank_mask:0xf// 0000000049FC: 0A7070FA FF01501A
	v_mul_f32_dpp v57, v26, v57 row_newbcast:1 row_mask:0xf bank_mask:0xf// 000000004A04: 0A7272FA FF01511A
	v_mul_f32_dpp v58, v26, v58 row_newbcast:2 row_mask:0xf bank_mask:0xf// 000000004A0C: 0A7474FA FF01521A
	v_mul_f32_dpp v59, v26, v59 row_newbcast:3 row_mask:0xf bank_mask:0xf// 000000004A14: 0A7676FA FF01531A
	v_cvt_f32_i32_e32 v60, v60                                 // 000000004A1C: 7E780B3C
	v_cvt_f32_i32_e32 v61, v61                                 // 000000004A20: 7E7A0B3D
	v_cvt_f32_i32_e32 v62, v62                                 // 000000004A24: 7E7C0B3E
	v_cvt_f32_i32_e32 v63, v63                                 // 000000004A28: 7E7E0B3F
	v_mul_f32_dpp v60, v26, v60 row_newbcast:4 row_mask:0xf bank_mask:0xf// 000000004A2C: 0A7878FA FF01541A
	v_mul_f32_dpp v61, v26, v61 row_newbcast:5 row_mask:0xf bank_mask:0xf// 000000004A34: 0A7A7AFA FF01551A
	v_mul_f32_dpp v62, v26, v62 row_newbcast:6 row_mask:0xf bank_mask:0xf// 000000004A3C: 0A7C7CFA FF01561A
	v_mul_f32_dpp v63, v26, v63 row_newbcast:7 row_mask:0xf bank_mask:0xf// 000000004A44: 0A7E7EFA FF01571A
	v_cvt_f32_i32_e32 v64, v64                                 // 000000004A4C: 7E800B40
	v_cvt_f32_i32_e32 v65, v65                                 // 000000004A50: 7E820B41
	v_cvt_f32_i32_e32 v66, v66                                 // 000000004A54: 7E840B42
	v_cvt_f32_i32_e32 v67, v67                                 // 000000004A58: 7E860B43
	v_mul_f32_dpp v64, v26, v64 row_newbcast:8 row_mask:0xf bank_mask:0xf// 000000004A5C: 0A8080FA FF01581A
	v_mul_f32_dpp v65, v26, v65 row_newbcast:9 row_mask:0xf bank_mask:0xf// 000000004A64: 0A8282FA FF01591A
	v_mul_f32_dpp v66, v26, v66 row_newbcast:10 row_mask:0xf bank_mask:0xf// 000000004A6C: 0A8484FA FF015A1A
	v_mul_f32_dpp v67, v26, v67 row_newbcast:11 row_mask:0xf bank_mask:0xf// 000000004A74: 0A8686FA FF015B1A
	v_cvt_f32_i32_e32 v68, v68                                 // 000000004A7C: 7E880B44
	v_cvt_f32_i32_e32 v69, v69                                 // 000000004A80: 7E8A0B45
	v_cvt_f32_i32_e32 v70, v70                                 // 000000004A84: 7E8C0B46
	v_cvt_f32_i32_e32 v71, v71                                 // 000000004A88: 7E8E0B47
	v_mul_f32_dpp v68, v26, v68 row_newbcast:12 row_mask:0xf bank_mask:0xf// 000000004A8C: 0A8888FA FF015C1A
	v_mul_f32_dpp v69, v26, v69 row_newbcast:13 row_mask:0xf bank_mask:0xf// 000000004A94: 0A8A8AFA FF015D1A
	v_mul_f32_dpp v70, v26, v70 row_newbcast:14 row_mask:0xf bank_mask:0xf// 000000004A9C: 0A8C8CFA FF015E1A
	v_mul_f32_dpp v71, v26, v71 row_newbcast:15 row_mask:0xf bank_mask:0xf// 000000004AA4: 0A8E8EFA FF015F1A
	v_mov_b32_e32 v4, v29                                      // 000000004AAC: 7E08031D
	v_mov_b32_e32 v5, v4                                       // 000000004AB0: 7E0A0304
	v_pk_mul_f32 v[40:41], v[4:5], v[40:41]                    // 000000004AB4: D3B14028 18025104
	v_pk_mul_f32 v[56:57], v[4:5], v[56:57]                    // 000000004ABC: D3B14038 18027104
	v_pk_mul_f32 v[42:43], v[4:5], v[42:43]                    // 000000004AC4: D3B1402A 18025504
	v_pk_mul_f32 v[58:59], v[4:5], v[58:59]                    // 000000004ACC: D3B1403A 18027504
	v_pk_mul_f32 v[44:45], v[4:5], v[44:45]                    // 000000004AD4: D3B1402C 18025904
	v_pk_mul_f32 v[60:61], v[4:5], v[60:61]                    // 000000004ADC: D3B1403C 18027904
	v_pk_mul_f32 v[46:47], v[4:5], v[46:47]                    // 000000004AE4: D3B1402E 18025D04
	v_pk_mul_f32 v[62:63], v[4:5], v[62:63]                    // 000000004AEC: D3B1403E 18027D04
	v_pk_mul_f32 v[48:49], v[4:5], v[48:49]                    // 000000004AF4: D3B14030 18026104
	v_pk_mul_f32 v[64:65], v[4:5], v[64:65]                    // 000000004AFC: D3B14040 18028104
	v_pk_mul_f32 v[50:51], v[4:5], v[50:51]                    // 000000004B04: D3B14032 18026504
	v_pk_mul_f32 v[66:67], v[4:5], v[66:67]                    // 000000004B0C: D3B14042 18028504
	v_pk_mul_f32 v[52:53], v[4:5], v[52:53]                    // 000000004B14: D3B14034 18026904
	v_pk_mul_f32 v[68:69], v[4:5], v[68:69]                    // 000000004B1C: D3B14044 18028904
	v_pk_mul_f32 v[54:55], v[4:5], v[54:55]                    // 000000004B24: D3B14036 18026D04
	v_pk_mul_f32 v[70:71], v[4:5], v[70:71]                    // 000000004B2C: D3B14046 18028D04
	s_cmp_eq_u32 s88, 0                                        // 000000004B34: BF068058
	s_cbranch_scc0 label_0A77                                  // 000000004B38: BF840225
	s_cmp_eq_u32 s89, 0                                        // 000000004B3C: BF068059
	s_cbranch_scc1 label_08F9                                  // 000000004B40: BF8500A5
	v_mov_b32_e32 v8, v1                                       // 000000004B44: 7E100301
	v_mov_b32_e32 v9, v1                                       // 000000004B48: 7E120301
	s_mov_b32 s60, s6                                          // 000000004B4C: BEBC0006
	s_mov_b32 s61, s6                                          // 000000004B50: BEBD0006
	v_pk_mul_f32 v[4:5], v[40:41], v[40:41]                    // 000000004B54: D3B14004 18025128
	v_pk_mul_f32 v[6:7], v[42:43], v[42:43]                    // 000000004B5C: D3B14006 1802552A
	v_pk_fma_f32 v[4:5], v[4:5], s[78:79], v[8:9]              // 000000004B64: D3B04004 1C209D04
	v_pk_fma_f32 v[6:7], v[6:7], s[78:79], v[8:9]              // 000000004B6C: D3B04006 1C209D06
	v_pk_mul_f32 v[4:5], v[4:5], v[40:41]                      // 000000004B74: D3B14004 18025104
	v_pk_mul_f32 v[6:7], v[6:7], v[42:43]                      // 000000004B7C: D3B14006 18025506
	v_pk_mul_f32 v[4:5], v[4:5], s[60:61]                      // 000000004B84: D3B14004 18007904
	v_pk_mul_f32 v[6:7], v[6:7], s[60:61]                      // 000000004B8C: D3B14006 18007906
	v_exp_f32_e32 v4, v4                                       // 000000004B94: 7E084104
	v_exp_f32_e32 v5, v5                                       // 000000004B98: 7E0A4105
	v_exp_f32_e32 v6, v6                                       // 000000004B9C: 7E0C4106
	v_exp_f32_e32 v7, v7                                       // 000000004BA0: 7E0E4107
	v_add_f32_e64 v4, v4, 1.0                                  // 000000004BA4: D1010004 0001E504
	v_add_f32_e64 v5, v5, 1.0                                  // 000000004BAC: D1010005 0001E505
	v_add_f32_e64 v6, v6, 1.0                                  // 000000004BB4: D1010006 0001E506
	v_add_f32_e64 v7, v7, 1.0                                  // 000000004BBC: D1010007 0001E507
	v_rcp_f32_e32 v4, v4                                       // 000000004BC4: 7E084504
	v_rcp_f32_e32 v5, v5                                       // 000000004BC8: 7E0A4505
	v_rcp_f32_e32 v6, v6                                       // 000000004BCC: 7E0C4506
	v_rcp_f32_e32 v7, v7                                       // 000000004BD0: 7E0E4507
	v_mul_f32_e32 v40, v40, v4                                 // 000000004BD4: 0A500928
	v_mul_f32_e32 v41, v41, v5                                 // 000000004BD8: 0A520B29
	v_mul_f32_e32 v42, v42, v6                                 // 000000004BDC: 0A540D2A
	v_mul_f32_e32 v43, v43, v7                                 // 000000004BE0: 0A560F2B
	v_mul_f32_e32 v40, v40, v56                                // 000000004BE4: 0A507128
	v_mul_f32_e32 v41, v41, v57                                // 000000004BE8: 0A527329
	v_mul_f32_e32 v42, v42, v58                                // 000000004BEC: 0A54752A
	v_mul_f32_e32 v43, v43, v59                                // 000000004BF0: 0A56772B
	v_pk_mul_f32 v[4:5], v[44:45], v[44:45]                    // 000000004BF4: D3B14004 1802592C
	v_pk_mul_f32 v[6:7], v[46:47], v[46:47]                    // 000000004BFC: D3B14006 18025D2E
	v_pk_fma_f32 v[4:5], v[4:5], s[78:79], v[8:9]              // 000000004C04: D3B04004 1C209D04
	v_pk_fma_f32 v[6:7], v[6:7], s[78:79], v[8:9]              // 000000004C0C: D3B04006 1C209D06
	v_pk_mul_f32 v[4:5], v[4:5], v[44:45]                      // 000000004C14: D3B14004 18025904
	v_pk_mul_f32 v[6:7], v[6:7], v[46:47]                      // 000000004C1C: D3B14006 18025D06
	v_pk_mul_f32 v[4:5], v[4:5], s[60:61]                      // 000000004C24: D3B14004 18007904
	v_pk_mul_f32 v[6:7], v[6:7], s[60:61]                      // 000000004C2C: D3B14006 18007906
	v_exp_f32_e32 v4, v4                                       // 000000004C34: 7E084104
	v_exp_f32_e32 v5, v5                                       // 000000004C38: 7E0A4105
	v_exp_f32_e32 v6, v6                                       // 000000004C3C: 7E0C4106
	v_exp_f32_e32 v7, v7                                       // 000000004C40: 7E0E4107
	v_add_f32_e64 v4, v4, 1.0                                  // 000000004C44: D1010004 0001E504
	v_add_f32_e64 v5, v5, 1.0                                  // 000000004C4C: D1010005 0001E505
	v_add_f32_e64 v6, v6, 1.0                                  // 000000004C54: D1010006 0001E506
	v_add_f32_e64 v7, v7, 1.0                                  // 000000004C5C: D1010007 0001E507
	v_rcp_f32_e32 v4, v4                                       // 000000004C64: 7E084504
	v_rcp_f32_e32 v5, v5                                       // 000000004C68: 7E0A4505
	v_rcp_f32_e32 v6, v6                                       // 000000004C6C: 7E0C4506
	v_rcp_f32_e32 v7, v7                                       // 000000004C70: 7E0E4507
	v_mul_f32_e32 v44, v44, v4                                 // 000000004C74: 0A58092C
	v_mul_f32_e32 v45, v45, v5                                 // 000000004C78: 0A5A0B2D
	v_mul_f32_e32 v46, v46, v6                                 // 000000004C7C: 0A5C0D2E
	v_mul_f32_e32 v47, v47, v7                                 // 000000004C80: 0A5E0F2F
	v_mul_f32_e32 v44, v44, v60                                // 000000004C84: 0A58792C
	v_mul_f32_e32 v45, v45, v61                                // 000000004C88: 0A5A7B2D
	v_mul_f32_e32 v46, v46, v62                                // 000000004C8C: 0A5C7D2E
	v_mul_f32_e32 v47, v47, v63                                // 000000004C90: 0A5E7F2F
	v_pk_mul_f32 v[4:5], v[48:49], v[48:49]                    // 000000004C94: D3B14004 18026130
	v_pk_mul_f32 v[6:7], v[50:51], v[50:51]                    // 000000004C9C: D3B14006 18026532
	v_pk_fma_f32 v[4:5], v[4:5], s[78:79], v[8:9]              // 000000004CA4: D3B04004 1C209D04
	v_pk_fma_f32 v[6:7], v[6:7], s[78:79], v[8:9]              // 000000004CAC: D3B04006 1C209D06
	v_pk_mul_f32 v[4:5], v[4:5], v[48:49]                      // 000000004CB4: D3B14004 18026104
	v_pk_mul_f32 v[6:7], v[6:7], v[50:51]                      // 000000004CBC: D3B14006 18026506
	v_pk_mul_f32 v[4:5], v[4:5], s[60:61]                      // 000000004CC4: D3B14004 18007904
	v_pk_mul_f32 v[6:7], v[6:7], s[60:61]                      // 000000004CCC: D3B14006 18007906
	v_exp_f32_e32 v4, v4                                       // 000000004CD4: 7E084104
	v_exp_f32_e32 v5, v5                                       // 000000004CD8: 7E0A4105
	v_exp_f32_e32 v6, v6                                       // 000000004CDC: 7E0C4106
	v_exp_f32_e32 v7, v7                                       // 000000004CE0: 7E0E4107
	v_add_f32_e64 v4, v4, 1.0                                  // 000000004CE4: D1010004 0001E504
	v_add_f32_e64 v5, v5, 1.0                                  // 000000004CEC: D1010005 0001E505
	v_add_f32_e64 v6, v6, 1.0                                  // 000000004CF4: D1010006 0001E506
	v_add_f32_e64 v7, v7, 1.0                                  // 000000004CFC: D1010007 0001E507
	v_rcp_f32_e32 v4, v4                                       // 000000004D04: 7E084504
	v_rcp_f32_e32 v5, v5                                       // 000000004D08: 7E0A4505
	v_rcp_f32_e32 v6, v6                                       // 000000004D0C: 7E0C4506
	v_rcp_f32_e32 v7, v7                                       // 000000004D10: 7E0E4507
	v_mul_f32_e32 v48, v48, v4                                 // 000000004D14: 0A600930
	v_mul_f32_e32 v49, v49, v5                                 // 000000004D18: 0A620B31
	v_mul_f32_e32 v50, v50, v6                                 // 000000004D1C: 0A640D32
	v_mul_f32_e32 v51, v51, v7                                 // 000000004D20: 0A660F33
	v_mul_f32_e32 v48, v48, v64                                // 000000004D24: 0A608130
	v_mul_f32_e32 v49, v49, v65                                // 000000004D28: 0A628331
	v_mul_f32_e32 v50, v50, v66                                // 000000004D2C: 0A648532
	v_mul_f32_e32 v51, v51, v67                                // 000000004D30: 0A668733
	v_pk_mul_f32 v[4:5], v[52:53], v[52:53]                    // 000000004D34: D3B14004 18026934
	v_pk_mul_f32 v[6:7], v[54:55], v[54:55]                    // 000000004D3C: D3B14006 18026D36
	v_pk_fma_f32 v[4:5], v[4:5], s[78:79], v[8:9]              // 000000004D44: D3B04004 1C209D04
	v_pk_fma_f32 v[6:7], v[6:7], s[78:79], v[8:9]              // 000000004D4C: D3B04006 1C209D06
	v_pk_mul_f32 v[4:5], v[4:5], v[52:53]                      // 000000004D54: D3B14004 18026904
	v_pk_mul_f32 v[6:7], v[6:7], v[54:55]                      // 000000004D5C: D3B14006 18026D06
	v_pk_mul_f32 v[4:5], v[4:5], s[60:61]                      // 000000004D64: D3B14004 18007904
	v_pk_mul_f32 v[6:7], v[6:7], s[60:61]                      // 000000004D6C: D3B14006 18007906
	v_exp_f32_e32 v4, v4                                       // 000000004D74: 7E084104
	v_exp_f32_e32 v5, v5                                       // 000000004D78: 7E0A4105
	v_exp_f32_e32 v6, v6                                       // 000000004D7C: 7E0C4106
	v_exp_f32_e32 v7, v7                                       // 000000004D80: 7E0E4107
	v_add_f32_e64 v4, v4, 1.0                                  // 000000004D84: D1010004 0001E504
	v_add_f32_e64 v5, v5, 1.0                                  // 000000004D8C: D1010005 0001E505
	v_add_f32_e64 v6, v6, 1.0                                  // 000000004D94: D1010006 0001E506
	v_add_f32_e64 v7, v7, 1.0                                  // 000000004D9C: D1010007 0001E507
	v_rcp_f32_e32 v4, v4                                       // 000000004DA4: 7E084504
	v_rcp_f32_e32 v5, v5                                       // 000000004DA8: 7E0A4505
	v_rcp_f32_e32 v6, v6                                       // 000000004DAC: 7E0C4506
	v_rcp_f32_e32 v7, v7                                       // 000000004DB0: 7E0E4507
	v_mul_f32_e32 v52, v52, v4                                 // 000000004DB4: 0A680934
	v_mul_f32_e32 v53, v53, v5                                 // 000000004DB8: 0A6A0B35
	v_mul_f32_e32 v54, v54, v6                                 // 000000004DBC: 0A6C0D36
	v_mul_f32_e32 v55, v55, v7                                 // 000000004DC0: 0A6E0F37
	v_mul_f32_e32 v52, v52, v68                                // 000000004DC4: 0A688934
	v_mul_f32_e32 v53, v53, v69                                // 000000004DC8: 0A6A8B35
	v_mul_f32_e32 v54, v54, v70                                // 000000004DCC: 0A6C8D36
	v_mul_f32_e32 v55, v55, v71                                // 000000004DD0: 0A6E8F37
	s_branch label_0979                                        // 000000004DD4: BF820080

0000000000004dd8 <label_08F9>:
	v_mul_f32_e64 v4, -v40, s6                                 // 000000004DD8: D1050004 20000D28
	v_mul_f32_e64 v5, -v41, s6                                 // 000000004DE0: D1050005 20000D29
	v_mul_f32_e64 v6, -v42, s6                                 // 000000004DE8: D1050006 20000D2A
	v_mul_f32_e64 v7, -v43, s6                                 // 000000004DF0: D1050007 20000D2B
	v_exp_f32_e32 v4, v4                                       // 000000004DF8: 7E084104
	v_exp_f32_e32 v5, v5                                       // 000000004DFC: 7E0A4105
	v_exp_f32_e32 v6, v6                                       // 000000004E00: 7E0C4106
	v_exp_f32_e32 v7, v7                                       // 000000004E04: 7E0E4107
	v_add_f32_e64 v4, v4, 1.0                                  // 000000004E08: D1010004 0001E504
	v_add_f32_e64 v5, v5, 1.0                                  // 000000004E10: D1010005 0001E505
	v_add_f32_e64 v6, v6, 1.0                                  // 000000004E18: D1010006 0001E506
	v_add_f32_e64 v7, v7, 1.0                                  // 000000004E20: D1010007 0001E507
	v_rcp_f32_e32 v4, v4                                       // 000000004E28: 7E084504
	v_rcp_f32_e32 v5, v5                                       // 000000004E2C: 7E0A4505
	v_rcp_f32_e32 v6, v6                                       // 000000004E30: 7E0C4506
	v_rcp_f32_e32 v7, v7                                       // 000000004E34: 7E0E4507
	v_mul_f32_e32 v40, v40, v4                                 // 000000004E38: 0A500928
	v_mul_f32_e32 v41, v41, v5                                 // 000000004E3C: 0A520B29
	v_mul_f32_e32 v42, v42, v6                                 // 000000004E40: 0A540D2A
	v_mul_f32_e32 v43, v43, v7                                 // 000000004E44: 0A560F2B
	v_mul_f32_e32 v40, v40, v56                                // 000000004E48: 0A507128
	v_mul_f32_e32 v41, v41, v57                                // 000000004E4C: 0A527329
	v_mul_f32_e32 v42, v42, v58                                // 000000004E50: 0A54752A
	v_mul_f32_e32 v43, v43, v59                                // 000000004E54: 0A56772B
	v_mul_f32_e64 v4, -v44, s6                                 // 000000004E58: D1050004 20000D2C
	v_mul_f32_e64 v5, -v45, s6                                 // 000000004E60: D1050005 20000D2D
	v_mul_f32_e64 v6, -v46, s6                                 // 000000004E68: D1050006 20000D2E
	v_mul_f32_e64 v7, -v47, s6                                 // 000000004E70: D1050007 20000D2F
	v_exp_f32_e32 v4, v4                                       // 000000004E78: 7E084104
	v_exp_f32_e32 v5, v5                                       // 000000004E7C: 7E0A4105
	v_exp_f32_e32 v6, v6                                       // 000000004E80: 7E0C4106
	v_exp_f32_e32 v7, v7                                       // 000000004E84: 7E0E4107
	v_add_f32_e64 v4, v4, 1.0                                  // 000000004E88: D1010004 0001E504
	v_add_f32_e64 v5, v5, 1.0                                  // 000000004E90: D1010005 0001E505
	v_add_f32_e64 v6, v6, 1.0                                  // 000000004E98: D1010006 0001E506
	v_add_f32_e64 v7, v7, 1.0                                  // 000000004EA0: D1010007 0001E507
	v_rcp_f32_e32 v4, v4                                       // 000000004EA8: 7E084504
	v_rcp_f32_e32 v5, v5                                       // 000000004EAC: 7E0A4505
	v_rcp_f32_e32 v6, v6                                       // 000000004EB0: 7E0C4506
	v_rcp_f32_e32 v7, v7                                       // 000000004EB4: 7E0E4507
	v_mul_f32_e32 v44, v44, v4                                 // 000000004EB8: 0A58092C
	v_mul_f32_e32 v45, v45, v5                                 // 000000004EBC: 0A5A0B2D
	v_mul_f32_e32 v46, v46, v6                                 // 000000004EC0: 0A5C0D2E
	v_mul_f32_e32 v47, v47, v7                                 // 000000004EC4: 0A5E0F2F
	v_mul_f32_e32 v44, v44, v60                                // 000000004EC8: 0A58792C
	v_mul_f32_e32 v45, v45, v61                                // 000000004ECC: 0A5A7B2D
	v_mul_f32_e32 v46, v46, v62                                // 000000004ED0: 0A5C7D2E
	v_mul_f32_e32 v47, v47, v63                                // 000000004ED4: 0A5E7F2F
	v_mul_f32_e64 v4, -v48, s6                                 // 000000004ED8: D1050004 20000D30
	v_mul_f32_e64 v5, -v49, s6                                 // 000000004EE0: D1050005 20000D31
	v_mul_f32_e64 v6, -v50, s6                                 // 000000004EE8: D1050006 20000D32
	v_mul_f32_e64 v7, -v51, s6                                 // 000000004EF0: D1050007 20000D33
	v_exp_f32_e32 v4, v4                                       // 000000004EF8: 7E084104
	v_exp_f32_e32 v5, v5                                       // 000000004EFC: 7E0A4105
	v_exp_f32_e32 v6, v6                                       // 000000004F00: 7E0C4106
	v_exp_f32_e32 v7, v7                                       // 000000004F04: 7E0E4107
	v_add_f32_e64 v4, v4, 1.0                                  // 000000004F08: D1010004 0001E504
	v_add_f32_e64 v5, v5, 1.0                                  // 000000004F10: D1010005 0001E505
	v_add_f32_e64 v6, v6, 1.0                                  // 000000004F18: D1010006 0001E506
	v_add_f32_e64 v7, v7, 1.0                                  // 000000004F20: D1010007 0001E507
	v_rcp_f32_e32 v4, v4                                       // 000000004F28: 7E084504
	v_rcp_f32_e32 v5, v5                                       // 000000004F2C: 7E0A4505
	v_rcp_f32_e32 v6, v6                                       // 000000004F30: 7E0C4506
	v_rcp_f32_e32 v7, v7                                       // 000000004F34: 7E0E4507
	v_mul_f32_e32 v48, v48, v4                                 // 000000004F38: 0A600930
	v_mul_f32_e32 v49, v49, v5                                 // 000000004F3C: 0A620B31
	v_mul_f32_e32 v50, v50, v6                                 // 000000004F40: 0A640D32
	v_mul_f32_e32 v51, v51, v7                                 // 000000004F44: 0A660F33
	v_mul_f32_e32 v48, v48, v64                                // 000000004F48: 0A608130
	v_mul_f32_e32 v49, v49, v65                                // 000000004F4C: 0A628331
	v_mul_f32_e32 v50, v50, v66                                // 000000004F50: 0A648532
	v_mul_f32_e32 v51, v51, v67                                // 000000004F54: 0A668733
	v_mul_f32_e64 v4, -v52, s6                                 // 000000004F58: D1050004 20000D34
	v_mul_f32_e64 v5, -v53, s6                                 // 000000004F60: D1050005 20000D35
	v_mul_f32_e64 v6, -v54, s6                                 // 000000004F68: D1050006 20000D36
	v_mul_f32_e64 v7, -v55, s6                                 // 000000004F70: D1050007 20000D37
	v_exp_f32_e32 v4, v4                                       // 000000004F78: 7E084104
	v_exp_f32_e32 v5, v5                                       // 000000004F7C: 7E0A4105
	v_exp_f32_e32 v6, v6                                       // 000000004F80: 7E0C4106
	v_exp_f32_e32 v7, v7                                       // 000000004F84: 7E0E4107
	v_add_f32_e64 v4, v4, 1.0                                  // 000000004F88: D1010004 0001E504
	v_add_f32_e64 v5, v5, 1.0                                  // 000000004F90: D1010005 0001E505
	v_add_f32_e64 v6, v6, 1.0                                  // 000000004F98: D1010006 0001E506
	v_add_f32_e64 v7, v7, 1.0                                  // 000000004FA0: D1010007 0001E507
	v_rcp_f32_e32 v4, v4                                       // 000000004FA8: 7E084504
	v_rcp_f32_e32 v5, v5                                       // 000000004FAC: 7E0A4505
	v_rcp_f32_e32 v6, v6                                       // 000000004FB0: 7E0C4506
	v_rcp_f32_e32 v7, v7                                       // 000000004FB4: 7E0E4507
	v_mul_f32_e32 v52, v52, v4                                 // 000000004FB8: 0A680934
	v_mul_f32_e32 v53, v53, v5                                 // 000000004FBC: 0A6A0B35
	v_mul_f32_e32 v54, v54, v6                                 // 000000004FC0: 0A6C0D36
	v_mul_f32_e32 v55, v55, v7                                 // 000000004FC4: 0A6E0F37
	v_mul_f32_e32 v52, v52, v68                                // 000000004FC8: 0A688934
	v_mul_f32_e32 v53, v53, v69                                // 000000004FCC: 0A6A8B35
	v_mul_f32_e32 v54, v54, v70                                // 000000004FD0: 0A6C8D36
	v_mul_f32_e32 v55, v55, v71                                // 000000004FD4: 0A6E8F37

0000000000004fd8 <label_0979>:
	v_cmp_u_f32_e64 s[46:47], v40, v40                         // 000000004FD8: D048002E 00025128
	v_add3_u32 v16, v40, v19, 1                                // 000000004FE0: D1FF0010 02062728
	v_cndmask_b32_e64 v4, v16, v18, s[46:47]                   // 000000004FE8: D1000004 00BA2510
	v_cmp_u_f32_e64 s[46:47], v41, v41                         // 000000004FF0: D048002E 00025329
	v_add3_u32 v16, v41, v19, 1                                // 000000004FF8: D1FF0010 02062729
	v_cndmask_b32_e64 v5, v16, v18, s[46:47]                   // 000000005000: D1000005 00BA2510
	v_perm_b32 v40, v5, v4, s52                                // 000000005008: D1ED0028 00D20905
	v_cmp_u_f32_e64 s[46:47], v42, v42                         // 000000005010: D048002E 0002552A
	v_add3_u32 v16, v42, v19, 1                                // 000000005018: D1FF0010 0206272A
	v_cndmask_b32_e64 v4, v16, v18, s[46:47]                   // 000000005020: D1000004 00BA2510
	v_cmp_u_f32_e64 s[46:47], v43, v43                         // 000000005028: D048002E 0002572B
	v_add3_u32 v16, v43, v19, 1                                // 000000005030: D1FF0010 0206272B
	v_cndmask_b32_e64 v5, v16, v18, s[46:47]                   // 000000005038: D1000005 00BA2510
	v_perm_b32 v41, v5, v4, s52                                // 000000005040: D1ED0029 00D20905
	v_cmp_u_f32_e64 s[46:47], v44, v44                         // 000000005048: D048002E 0002592C
	v_add3_u32 v16, v44, v19, 1                                // 000000005050: D1FF0010 0206272C
	v_cndmask_b32_e64 v4, v16, v18, s[46:47]                   // 000000005058: D1000004 00BA2510
	v_cmp_u_f32_e64 s[46:47], v45, v45                         // 000000005060: D048002E 00025B2D
	v_add3_u32 v16, v45, v19, 1                                // 000000005068: D1FF0010 0206272D
	v_cndmask_b32_e64 v5, v16, v18, s[46:47]                   // 000000005070: D1000005 00BA2510
	v_perm_b32 v42, v5, v4, s52                                // 000000005078: D1ED002A 00D20905
	v_cmp_u_f32_e64 s[46:47], v46, v46                         // 000000005080: D048002E 00025D2E
	v_add3_u32 v16, v46, v19, 1                                // 000000005088: D1FF0010 0206272E
	v_cndmask_b32_e64 v4, v16, v18, s[46:47]                   // 000000005090: D1000004 00BA2510
	v_cmp_u_f32_e64 s[46:47], v47, v47                         // 000000005098: D048002E 00025F2F
	v_add3_u32 v16, v47, v19, 1                                // 0000000050A0: D1FF0010 0206272F
	v_cndmask_b32_e64 v5, v16, v18, s[46:47]                   // 0000000050A8: D1000005 00BA2510
	v_perm_b32 v43, v5, v4, s52                                // 0000000050B0: D1ED002B 00D20905
	v_cmp_u_f32_e64 s[46:47], v48, v48                         // 0000000050B8: D048002E 00026130
	v_add3_u32 v16, v48, v19, 1                                // 0000000050C0: D1FF0010 02062730
	v_cndmask_b32_e64 v4, v16, v18, s[46:47]                   // 0000000050C8: D1000004 00BA2510
	v_cmp_u_f32_e64 s[46:47], v49, v49                         // 0000000050D0: D048002E 00026331
	v_add3_u32 v16, v49, v19, 1                                // 0000000050D8: D1FF0010 02062731
	v_cndmask_b32_e64 v5, v16, v18, s[46:47]                   // 0000000050E0: D1000005 00BA2510
	v_perm_b32 v44, v5, v4, s52                                // 0000000050E8: D1ED002C 00D20905
	v_cmp_u_f32_e64 s[46:47], v50, v50                         // 0000000050F0: D048002E 00026532
	v_add3_u32 v16, v50, v19, 1                                // 0000000050F8: D1FF0010 02062732
	v_cndmask_b32_e64 v4, v16, v18, s[46:47]                   // 000000005100: D1000004 00BA2510
	v_cmp_u_f32_e64 s[46:47], v51, v51                         // 000000005108: D048002E 00026733
	v_add3_u32 v16, v51, v19, 1                                // 000000005110: D1FF0010 02062733
	v_cndmask_b32_e64 v5, v16, v18, s[46:47]                   // 000000005118: D1000005 00BA2510
	v_perm_b32 v45, v5, v4, s52                                // 000000005120: D1ED002D 00D20905
	v_cmp_u_f32_e64 s[46:47], v52, v52                         // 000000005128: D048002E 00026934
	v_add3_u32 v16, v52, v19, 1                                // 000000005130: D1FF0010 02062734
	v_cndmask_b32_e64 v4, v16, v18, s[46:47]                   // 000000005138: D1000004 00BA2510
	v_cmp_u_f32_e64 s[46:47], v53, v53                         // 000000005140: D048002E 00026B35
	v_add3_u32 v16, v53, v19, 1                                // 000000005148: D1FF0010 02062735
	v_cndmask_b32_e64 v5, v16, v18, s[46:47]                   // 000000005150: D1000005 00BA2510
	v_perm_b32 v46, v5, v4, s52                                // 000000005158: D1ED002E 00D20905
	v_cmp_u_f32_e64 s[46:47], v54, v54                         // 000000005160: D048002E 00026D36
	v_add3_u32 v16, v54, v19, 1                                // 000000005168: D1FF0010 02062736
	v_cndmask_b32_e64 v4, v16, v18, s[46:47]                   // 000000005170: D1000004 00BA2510
	v_cmp_u_f32_e64 s[46:47], v55, v55                         // 000000005178: D048002E 00026F37
	v_add3_u32 v16, v55, v19, 1                                // 000000005180: D1FF0010 02062737
	v_cndmask_b32_e64 v5, v16, v18, s[46:47]                   // 000000005188: D1000005 00BA2510
	v_perm_b32 v47, v5, v4, s52                                // 000000005190: D1ED002F 00D20905
	ds_write_b64 v20, v[40:41]                                 // 000000005198: D89A0000 00002814
	ds_write_b64 v20, v[42:43] offset:2176                     // 0000000051A0: D89A0880 00002A14
	ds_write_b64 v20, v[44:45] offset:4352                     // 0000000051A8: D89A1100 00002C14
	ds_write_b64 v20, v[46:47] offset:6528                     // 0000000051B0: D89A1980 00002E14
	v_lshrrev_b32_e32 v4, 5, v0                                // 0000000051B8: 20080085
	v_xor_b32_e32 v5, 1, v4                                    // 0000000051BC: 2A0A0881
	s_mul_i32 s60, s65, 2                                      // 0000000051C0: 923C8241
	s_cmp_eq_u32 s88, 0                                        // 0000000051C4: BF068058
	s_cselect_b32 s61, 1, 4                                    // 0000000051C8: 853D8481
	s_mul_i32 s60, s61, s60                                    // 0000000051CC: 923C3C3D
	v_readlane_b32 s82, v3, 0                                  // 0000000051D0: D2890052 00010103
	s_lshr_b32 s61, s82, 24                                    // 0000000051D8: 8F3D9852
	s_and_b32 s82, s82, 0xffffff                               // 0000000051DC: 8652FF52 00FFFFFF
	s_mul_i32 s82, s82, s71                                    // 0000000051E4: 92524752
	s_mul_i32 s61, s60, s61                                    // 0000000051E8: 923D3D3C
	s_add_u32 s82, s82, s61                                    // 0000000051EC: 80523D52
	v_mul_lo_u32 v6, v5, s82                                   // 0000000051F0: D2850006 0000A505
	v_readlane_b32 s82, v3, 1                                  // 0000000051F8: D2890052 00010303
	s_lshr_b32 s61, s82, 24                                    // 000000005200: 8F3D9852
	s_and_b32 s82, s82, 0xffffff                               // 000000005204: 8652FF52 00FFFFFF
	s_mul_i32 s82, s82, s71                                    // 00000000520C: 92524752
	s_mul_i32 s61, s60, s61                                    // 000000005210: 923D3D3C
	s_add_u32 s82, s82, s61                                    // 000000005214: 80523D52
	v_mul_lo_u32 v7, v4, s82                                   // 000000005218: D2850007 0000A504
	v_add_u32_e32 v32, v6, v7                                  // 000000005220: 68400F06
	v_readlane_b32 s82, v3, 2                                  // 000000005224: D2890052 00010503
	s_lshr_b32 s61, s82, 24                                    // 00000000522C: 8F3D9852
	s_and_b32 s82, s82, 0xffffff                               // 000000005230: 8652FF52 00FFFFFF
	s_mul_i32 s82, s82, s71                                    // 000000005238: 92524752
	s_mul_i32 s61, s60, s61                                    // 00000000523C: 923D3D3C
	s_add_u32 s82, s82, s61                                    // 000000005240: 80523D52
	v_mul_lo_u32 v6, v5, s82                                   // 000000005244: D2850006 0000A505
	v_readlane_b32 s82, v3, 3                                  // 00000000524C: D2890052 00010703
	s_lshr_b32 s61, s82, 24                                    // 000000005254: 8F3D9852
	s_and_b32 s82, s82, 0xffffff                               // 000000005258: 8652FF52 00FFFFFF
	s_mul_i32 s82, s82, s71                                    // 000000005260: 92524752
	s_mul_i32 s61, s60, s61                                    // 000000005264: 923D3D3C
	s_add_u32 s82, s82, s61                                    // 000000005268: 80523D52
	v_mul_lo_u32 v7, v4, s82                                   // 00000000526C: D2850007 0000A504
	v_add_u32_e32 v33, v6, v7                                  // 000000005274: 68420F06
	v_and_b32_e32 v4, 31, v0                                   // 000000005278: 2608009F
	v_lshrrev_b32_e32 v4, 1, v4                                // 00000000527C: 20080881
	s_cmp_eq_u32 s88, 0                                        // 000000005280: BF068058
	s_cselect_b32 s61, 2, 4                                    // 000000005284: 853D8482
	v_mul_lo_u32 v4, v4, s61                                   // 000000005288: D2850004 00007B04
	v_and_b32_e64 v5, v0, 1                                    // 000000005290: D1130005 00010300
	v_add_u32_e32 v4, v4, v5                                   // 000000005298: 68080B04
	v_lshlrev_b32_e32 v4, 2, v4                                // 00000000529C: 24080882
	v_add_u32_e32 v32, v32, v4                                 // 0000000052A0: 68400920
	v_add_u32_e32 v33, v33, v4                                 // 0000000052A4: 68420921
	s_waitcnt lgkmcnt(0)                                       // 0000000052A8: BF8CC07F
	s_barrier                                                  // 0000000052AC: BF8A0000
	ds_read_b32 v40, v21                                       // 0000000052B0: D86C0000 28000015
	ds_read_b32 v41, v21 offset:64                             // 0000000052B8: D86C0040 29000015
	ds_read_b32 v42, v21 offset:2176                           // 0000000052C0: D86C0880 2A000015
	ds_read_b32 v43, v21 offset:2240                           // 0000000052C8: D86C08C0 2B000015
	ds_read_b32 v44, v21 offset:4352                           // 0000000052D0: D86C1100 2C000015
	ds_read_b32 v45, v21 offset:4416                           // 0000000052D8: D86C1140 2D000015
	ds_read_b32 v46, v21 offset:6528                           // 0000000052E0: D86C1980 2E000015
	ds_read_b32 v47, v21 offset:6592                           // 0000000052E8: D86C19C0 2F000015
	s_waitcnt lgkmcnt(0)                                       // 0000000052F0: BF8CC07F
	s_mov_b32 s36, -1                                          // 0000000052F4: BEA400C1
	s_mov_b32 s37, -1                                          // 0000000052F8: BEA500C1
	v_mov_b32_e32 v7, 0                                        // 0000000052FC: 7E0E0280
	s_or_b32 s9, s9, 0x40000                                   // 000000005300: 8709FF09 00040000
	s_mov_b64 exec, s[36:37]                                   // 000000005308: BEFE0124
	v_mov_b32_e32 v6, v32                                      // 00000000530C: 7E0C0320
	s_mov_b64 s[60:61], 0                                      // 000000005310: BEBC0180
	v_readlane_b32 s82, v3, 0                                  // 000000005314: D2890052 00010103
	s_and_b32 s82, s82, 0xffffff                               // 00000000531C: 8652FF52 00FFFFFF
	s_cmp_lt_u32 s82, s66                                      // 000000005324: BF0A4252
	s_cselect_b32 s20, s36, s60                                // 000000005328: 85143C24
	v_readlane_b32 s82, v3, 1                                  // 00000000532C: D2890052 00010303
	s_and_b32 s82, s82, 0xffffff                               // 000000005334: 8652FF52 00FFFFFF
	s_cmp_lt_u32 s82, s66                                      // 00000000533C: BF0A4252
	s_cselect_b32 s21, s36, s60                                // 000000005340: 85153C24
	s_mov_b64 exec, s[20:21]                                   // 000000005344: BEFE0114
	buffer_store_dword v40, v6, s[8:11], 0 offen               // 000000005348: E0701000 80022806
	buffer_store_dword v42, v6, s[8:11], 0 offen offset:128    // 000000005350: E0701080 80022A06
	buffer_store_dword v44, v6, s[8:11], 0 offen offset:256    // 000000005358: E0701100 80022C06
	buffer_store_dword v46, v6, s[8:11], 0 offen offset:384    // 000000005360: E0701180 80022E06
	s_mov_b64 exec, s[36:37]                                   // 000000005368: BEFE0124
	v_mov_b32_e32 v6, v33                                      // 00000000536C: 7E0C0321
	s_mov_b64 s[60:61], 0                                      // 000000005370: BEBC0180
	v_readlane_b32 s82, v3, 2                                  // 000000005374: D2890052 00010503
	s_and_b32 s82, s82, 0xffffff                               // 00000000537C: 8652FF52 00FFFFFF
	s_cmp_lt_u32 s82, s66                                      // 000000005384: BF0A4252
	s_cselect_b32 s20, s36, s60                                // 000000005388: 85143C24
	v_readlane_b32 s82, v3, 3                                  // 00000000538C: D2890052 00010703
	s_and_b32 s82, s82, 0xffffff                               // 000000005394: 8652FF52 00FFFFFF
	s_cmp_lt_u32 s82, s66                                      // 00000000539C: BF0A4252
	s_cselect_b32 s21, s36, s60                                // 0000000053A0: 85153C24
	s_mov_b64 exec, s[20:21]                                   // 0000000053A4: BEFE0114
	buffer_store_dword v41, v6, s[8:11], 0 offen               // 0000000053A8: E0701000 80022906
	buffer_store_dword v43, v6, s[8:11], 0 offen offset:128    // 0000000053B0: E0701080 80022B06
	buffer_store_dword v45, v6, s[8:11], 0 offen offset:256    // 0000000053B8: E0701100 80022D06
	buffer_store_dword v47, v6, s[8:11], 0 offen offset:384    // 0000000053C0: E0701180 80022F06
	s_mov_b64 exec, s[36:37]                                   // 0000000053C8: BEFE0124
	s_branch label_0BED                                        // 0000000053CC: BF820176

00000000000053d0 <label_0A77>:
	ds_write_b64 v20, v[40:41]                                 // 0000000053D0: D89A0000 00002814
	ds_write_b64 v20, v[44:45] offset:2176                     // 0000000053D8: D89A0880 00002C14
	ds_write_b64 v20, v[48:49] offset:4352                     // 0000000053E0: D89A1100 00003014
	ds_write_b64 v20, v[52:53] offset:6528                     // 0000000053E8: D89A1980 00003414
	v_lshrrev_b32_e32 v4, 5, v0                                // 0000000053F0: 20080085
	v_xor_b32_e32 v5, 1, v4                                    // 0000000053F4: 2A0A0881
	s_mul_i32 s60, s65, 2                                      // 0000000053F8: 923C8241
	s_cmp_eq_u32 s88, 0                                        // 0000000053FC: BF068058
	s_cselect_b32 s61, 1, 4                                    // 000000005400: 853D8481
	s_mul_i32 s60, s61, s60                                    // 000000005404: 923C3C3D
	v_readlane_b32 s82, v3, 0                                  // 000000005408: D2890052 00010103
	s_lshr_b32 s61, s82, 24                                    // 000000005410: 8F3D9852
	s_and_b32 s82, s82, 0xffffff                               // 000000005414: 8652FF52 00FFFFFF
	s_mul_i32 s82, s82, s71                                    // 00000000541C: 92524752
	s_mul_i32 s61, s60, s61                                    // 000000005420: 923D3D3C
	s_add_u32 s82, s82, s61                                    // 000000005424: 80523D52
	v_mul_lo_u32 v6, v5, s82                                   // 000000005428: D2850006 0000A505
	v_readlane_b32 s82, v3, 1                                  // 000000005430: D2890052 00010303
	s_lshr_b32 s61, s82, 24                                    // 000000005438: 8F3D9852
	s_and_b32 s82, s82, 0xffffff                               // 00000000543C: 8652FF52 00FFFFFF
	s_mul_i32 s82, s82, s71                                    // 000000005444: 92524752
	s_mul_i32 s61, s60, s61                                    // 000000005448: 923D3D3C
	s_add_u32 s82, s82, s61                                    // 00000000544C: 80523D52
	v_mul_lo_u32 v7, v4, s82                                   // 000000005450: D2850007 0000A504
	v_add_u32_e32 v32, v6, v7                                  // 000000005458: 68400F06
	v_readlane_b32 s82, v3, 2                                  // 00000000545C: D2890052 00010503
	s_lshr_b32 s61, s82, 24                                    // 000000005464: 8F3D9852
	s_and_b32 s82, s82, 0xffffff                               // 000000005468: 8652FF52 00FFFFFF
	s_mul_i32 s82, s82, s71                                    // 000000005470: 92524752
	s_mul_i32 s61, s60, s61                                    // 000000005474: 923D3D3C
	s_add_u32 s82, s82, s61                                    // 000000005478: 80523D52
	v_mul_lo_u32 v6, v5, s82                                   // 00000000547C: D2850006 0000A505
	v_readlane_b32 s82, v3, 3                                  // 000000005484: D2890052 00010703
	s_lshr_b32 s61, s82, 24                                    // 00000000548C: 8F3D9852
	s_and_b32 s82, s82, 0xffffff                               // 000000005490: 8652FF52 00FFFFFF
	s_mul_i32 s82, s82, s71                                    // 000000005498: 92524752
	s_mul_i32 s61, s60, s61                                    // 00000000549C: 923D3D3C
	s_add_u32 s82, s82, s61                                    // 0000000054A0: 80523D52
	v_mul_lo_u32 v7, v4, s82                                   // 0000000054A4: D2850007 0000A504
	v_add_u32_e32 v33, v6, v7                                  // 0000000054AC: 68420F06
	v_and_b32_e32 v4, 31, v0                                   // 0000000054B0: 2608009F
	v_lshrrev_b32_e32 v4, 1, v4                                // 0000000054B4: 20080881
	s_cmp_eq_u32 s88, 0                                        // 0000000054B8: BF068058
	s_cselect_b32 s61, 2, 4                                    // 0000000054BC: 853D8482
	v_mul_lo_u32 v4, v4, s61                                   // 0000000054C0: D2850004 00007B04
	v_and_b32_e64 v5, v0, 1                                    // 0000000054C8: D1130005 00010300
	v_add_u32_e32 v4, v4, v5                                   // 0000000054D0: 68080B04
	v_lshlrev_b32_e32 v4, 2, v4                                // 0000000054D4: 24080882
	v_add_u32_e32 v32, v32, v4                                 // 0000000054D8: 68400920
	v_add_u32_e32 v33, v33, v4                                 // 0000000054DC: 68420921
	s_waitcnt lgkmcnt(0)                                       // 0000000054E0: BF8CC07F
	s_barrier                                                  // 0000000054E4: BF8A0000
	ds_read_b32 v40, v21                                       // 0000000054E8: D86C0000 28000015
	ds_read_b32 v41, v21 offset:64                             // 0000000054F0: D86C0040 29000015
	ds_read_b32 v44, v21 offset:2176                           // 0000000054F8: D86C0880 2C000015
	ds_read_b32 v45, v21 offset:2240                           // 000000005500: D86C08C0 2D000015
	ds_read_b32 v48, v21 offset:4352                           // 000000005508: D86C1100 30000015
	ds_read_b32 v49, v21 offset:4416                           // 000000005510: D86C1140 31000015
	ds_read_b32 v52, v21 offset:6528                           // 000000005518: D86C1980 34000015
	ds_read_b32 v53, v21 offset:6592                           // 000000005520: D86C19C0 35000015
	s_waitcnt lgkmcnt(0)                                       // 000000005528: BF8CC07F
	s_mov_b32 s36, -1                                          // 00000000552C: BEA400C1
	s_mov_b32 s37, -1                                          // 000000005530: BEA500C1
	v_mov_b32_e32 v7, 0                                        // 000000005534: 7E0E0280
	s_mov_b64 exec, s[36:37]                                   // 000000005538: BEFE0124
	v_mov_b32_e32 v6, v32                                      // 00000000553C: 7E0C0320
	s_mov_b64 s[60:61], 0                                      // 000000005540: BEBC0180
	v_readlane_b32 s82, v3, 0                                  // 000000005544: D2890052 00010103
	s_and_b32 s82, s82, 0xffffff                               // 00000000554C: 8652FF52 00FFFFFF
	s_cmp_lt_u32 s82, s66                                      // 000000005554: BF0A4252
	s_cselect_b32 s20, s36, s60                                // 000000005558: 85143C24
	v_readlane_b32 s82, v3, 1                                  // 00000000555C: D2890052 00010303
	s_and_b32 s82, s82, 0xffffff                               // 000000005564: 8652FF52 00FFFFFF
	s_cmp_lt_u32 s82, s66                                      // 00000000556C: BF0A4252
	s_cselect_b32 s21, s36, s60                                // 000000005570: 85153C24
	s_mov_b64 exec, s[20:21]                                   // 000000005574: BEFE0114
	global_atomic_add_f32 v6, v40, s[8:9]                      // 000000005578: DD348000 00082806
	global_atomic_add_f32 v6, v44, s[8:9] offset:256           // 000000005580: DD348100 00082C06
	global_atomic_add_f32 v6, v48, s[8:9] offset:512           // 000000005588: DD348200 00083006
	global_atomic_add_f32 v6, v52, s[8:9] offset:768           // 000000005590: DD348300 00083406
	s_mov_b64 exec, s[36:37]                                   // 000000005598: BEFE0124
	v_mov_b32_e32 v6, v33                                      // 00000000559C: 7E0C0321
	s_mov_b64 s[60:61], 0                                      // 0000000055A0: BEBC0180
	v_readlane_b32 s82, v3, 2                                  // 0000000055A4: D2890052 00010503
	s_and_b32 s82, s82, 0xffffff                               // 0000000055AC: 8652FF52 00FFFFFF
	s_cmp_lt_u32 s82, s66                                      // 0000000055B4: BF0A4252
	s_cselect_b32 s20, s36, s60                                // 0000000055B8: 85143C24
	v_readlane_b32 s82, v3, 3                                  // 0000000055BC: D2890052 00010703
	s_and_b32 s82, s82, 0xffffff                               // 0000000055C4: 8652FF52 00FFFFFF
	s_cmp_lt_u32 s82, s66                                      // 0000000055CC: BF0A4252
	s_cselect_b32 s21, s36, s60                                // 0000000055D0: 85153C24
	s_mov_b64 exec, s[20:21]                                   // 0000000055D4: BEFE0114
	global_atomic_add_f32 v6, v41, s[8:9]                      // 0000000055D8: DD348000 00082906
	global_atomic_add_f32 v6, v45, s[8:9] offset:256           // 0000000055E0: DD348100 00082D06
	global_atomic_add_f32 v6, v49, s[8:9] offset:512           // 0000000055E8: DD348200 00083106
	global_atomic_add_f32 v6, v53, s[8:9] offset:768           // 0000000055F0: DD348300 00083506
	s_mov_b64 exec, s[36:37]                                   // 0000000055F8: BEFE0124
	ds_write_b64 v20, v[42:43]                                 // 0000000055FC: D89A0000 00002A14
	ds_write_b64 v20, v[46:47] offset:2176                     // 000000005604: D89A0880 00002E14
	ds_write_b64 v20, v[50:51] offset:4352                     // 00000000560C: D89A1100 00003214
	ds_write_b64 v20, v[54:55] offset:6528                     // 000000005614: D89A1980 00003614
	s_waitcnt lgkmcnt(0)                                       // 00000000561C: BF8CC07F
	s_barrier                                                  // 000000005620: BF8A0000
	ds_read_b32 v42, v21                                       // 000000005624: D86C0000 2A000015
	ds_read_b32 v43, v21 offset:64                             // 00000000562C: D86C0040 2B000015
	ds_read_b32 v46, v21 offset:2176                           // 000000005634: D86C0880 2E000015
	ds_read_b32 v47, v21 offset:2240                           // 00000000563C: D86C08C0 2F000015
	ds_read_b32 v50, v21 offset:4352                           // 000000005644: D86C1100 32000015
	ds_read_b32 v51, v21 offset:4416                           // 00000000564C: D86C1140 33000015
	ds_read_b32 v54, v21 offset:6528                           // 000000005654: D86C1980 36000015
	ds_read_b32 v55, v21 offset:6592                           // 00000000565C: D86C19C0 37000015
	s_waitcnt lgkmcnt(0)                                       // 000000005664: BF8CC07F
	v_mov_b32_e32 v7, 0                                        // 000000005668: 7E0E0280
	s_mov_b64 exec, s[36:37]                                   // 00000000566C: BEFE0124
	v_mov_b32_e32 v6, v32                                      // 000000005670: 7E0C0320
	s_mov_b64 s[60:61], 0                                      // 000000005674: BEBC0180
	v_readlane_b32 s82, v3, 0                                  // 000000005678: D2890052 00010103
	s_and_b32 s82, s82, 0xffffff                               // 000000005680: 8652FF52 00FFFFFF
	s_cmp_lt_u32 s82, s66                                      // 000000005688: BF0A4252
	s_cselect_b32 s20, s36, s60                                // 00000000568C: 85143C24
	v_readlane_b32 s82, v3, 1                                  // 000000005690: D2890052 00010303
	s_and_b32 s82, s82, 0xffffff                               // 000000005698: 8652FF52 00FFFFFF
	s_cmp_lt_u32 s82, s66                                      // 0000000056A0: BF0A4252
	s_cselect_b32 s21, s36, s60                                // 0000000056A4: 85153C24
	s_mov_b64 exec, s[20:21]                                   // 0000000056A8: BEFE0114
	global_atomic_add_f32 v6, v42, s[8:9] offset:8             // 0000000056AC: DD348008 00082A06
	global_atomic_add_f32 v6, v46, s[8:9] offset:264           // 0000000056B4: DD348108 00082E06
	global_atomic_add_f32 v6, v50, s[8:9] offset:520           // 0000000056BC: DD348208 00083206
	global_atomic_add_f32 v6, v54, s[8:9] offset:776           // 0000000056C4: DD348308 00083606
	s_mov_b64 exec, s[36:37]                                   // 0000000056CC: BEFE0124
	v_mov_b32_e32 v6, v33                                      // 0000000056D0: 7E0C0321
	s_mov_b64 s[60:61], 0                                      // 0000000056D4: BEBC0180
	v_readlane_b32 s82, v3, 2                                  // 0000000056D8: D2890052 00010503
	s_and_b32 s82, s82, 0xffffff                               // 0000000056E0: 8652FF52 00FFFFFF
	s_cmp_lt_u32 s82, s66                                      // 0000000056E8: BF0A4252
	s_cselect_b32 s20, s36, s60                                // 0000000056EC: 85143C24
	v_readlane_b32 s82, v3, 3                                  // 0000000056F0: D2890052 00010703
	s_and_b32 s82, s82, 0xffffff                               // 0000000056F8: 8652FF52 00FFFFFF
	s_cmp_lt_u32 s82, s66                                      // 000000005700: BF0A4252
	s_cselect_b32 s21, s36, s60                                // 000000005704: 85153C24
	s_mov_b64 exec, s[20:21]                                   // 000000005708: BEFE0114
	global_atomic_add_f32 v6, v43, s[8:9] offset:8             // 00000000570C: DD348008 00082B06
	global_atomic_add_f32 v6, v47, s[8:9] offset:264           // 000000005714: DD348108 00082F06
	global_atomic_add_f32 v6, v51, s[8:9] offset:520           // 00000000571C: DD348208 00083306
	global_atomic_add_f32 v6, v55, s[8:9] offset:776           // 000000005724: DD348308 00083706
	s_mov_b64 exec, s[36:37]                                   // 00000000572C: BEFE0124
	ds_write_b64 v20, v[56:57]                                 // 000000005730: D89A0000 00003814
	ds_write_b64 v20, v[60:61] offset:2176                     // 000000005738: D89A0880 00003C14
	ds_write_b64 v20, v[64:65] offset:4352                     // 000000005740: D89A1100 00004014
	ds_write_b64 v20, v[68:69] offset:6528                     // 000000005748: D89A1980 00004414
	s_waitcnt lgkmcnt(0)                                       // 000000005750: BF8CC07F
	s_barrier                                                  // 000000005754: BF8A0000
	ds_read_b32 v56, v21                                       // 000000005758: D86C0000 38000015
	ds_read_b32 v57, v21 offset:64                             // 000000005760: D86C0040 39000015
	ds_read_b32 v60, v21 offset:2176                           // 000000005768: D86C0880 3C000015
	ds_read_b32 v61, v21 offset:2240                           // 000000005770: D86C08C0 3D000015
	ds_read_b32 v64, v21 offset:4352                           // 000000005778: D86C1100 40000015
	ds_read_b32 v65, v21 offset:4416                           // 000000005780: D86C1140 41000015
	ds_read_b32 v68, v21 offset:6528                           // 000000005788: D86C1980 44000015
	ds_read_b32 v69, v21 offset:6592                           // 000000005790: D86C19C0 45000015
	s_mul_i32 s60, s65, 4                                      // 000000005798: 923C8441
	s_add_u32 s8, s60, s8                                      // 00000000579C: 8008083C
	s_addc_u32 s9, 0, s9                                       // 0000000057A0: 82090980
	s_waitcnt lgkmcnt(0)                                       // 0000000057A4: BF8CC07F
	v_mov_b32_e32 v7, 0                                        // 0000000057A8: 7E0E0280
	s_mov_b64 exec, s[36:37]                                   // 0000000057AC: BEFE0124
	v_mov_b32_e32 v6, v32                                      // 0000000057B0: 7E0C0320
	s_mov_b64 s[60:61], 0                                      // 0000000057B4: BEBC0180
	v_readlane_b32 s82, v3, 0                                  // 0000000057B8: D2890052 00010103
	s_and_b32 s82, s82, 0xffffff                               // 0000000057C0: 8652FF52 00FFFFFF
	s_cmp_lt_u32 s82, s66                                      // 0000000057C8: BF0A4252
	s_cselect_b32 s20, s36, s60                                // 0000000057CC: 85143C24
	v_readlane_b32 s82, v3, 1                                  // 0000000057D0: D2890052 00010303
	s_and_b32 s82, s82, 0xffffff                               // 0000000057D8: 8652FF52 00FFFFFF
	s_cmp_lt_u32 s82, s66                                      // 0000000057E0: BF0A4252
	s_cselect_b32 s21, s36, s60                                // 0000000057E4: 85153C24
	s_mov_b64 exec, s[20:21]                                   // 0000000057E8: BEFE0114
	global_atomic_add_f32 v6, v56, s[8:9]                      // 0000000057EC: DD348000 00083806
	global_atomic_add_f32 v6, v60, s[8:9] offset:256           // 0000000057F4: DD348100 00083C06
	global_atomic_add_f32 v6, v64, s[8:9] offset:512           // 0000000057FC: DD348200 00084006
	global_atomic_add_f32 v6, v68, s[8:9] offset:768           // 000000005804: DD348300 00084406
	s_mov_b64 exec, s[36:37]                                   // 00000000580C: BEFE0124
	v_mov_b32_e32 v6, v33                                      // 000000005810: 7E0C0321
	s_mov_b64 s[60:61], 0                                      // 000000005814: BEBC0180
	v_readlane_b32 s82, v3, 2                                  // 000000005818: D2890052 00010503
	s_and_b32 s82, s82, 0xffffff                               // 000000005820: 8652FF52 00FFFFFF
	s_cmp_lt_u32 s82, s66                                      // 000000005828: BF0A4252
	s_cselect_b32 s20, s36, s60                                // 00000000582C: 85143C24
	v_readlane_b32 s82, v3, 3                                  // 000000005830: D2890052 00010703
	s_and_b32 s82, s82, 0xffffff                               // 000000005838: 8652FF52 00FFFFFF
	s_cmp_lt_u32 s82, s66                                      // 000000005840: BF0A4252
	s_cselect_b32 s21, s36, s60                                // 000000005844: 85153C24
	s_mov_b64 exec, s[20:21]                                   // 000000005848: BEFE0114
	global_atomic_add_f32 v6, v57, s[8:9]                      // 00000000584C: DD348000 00083906
	global_atomic_add_f32 v6, v61, s[8:9] offset:256           // 000000005854: DD348100 00083D06
	global_atomic_add_f32 v6, v65, s[8:9] offset:512           // 00000000585C: DD348200 00084106
	global_atomic_add_f32 v6, v69, s[8:9] offset:768           // 000000005864: DD348300 00084506
	s_mov_b64 exec, s[36:37]                                   // 00000000586C: BEFE0124
	ds_write_b64 v20, v[58:59]                                 // 000000005870: D89A0000 00003A14
	ds_write_b64 v20, v[62:63] offset:2176                     // 000000005878: D89A0880 00003E14
	ds_write_b64 v20, v[66:67] offset:4352                     // 000000005880: D89A1100 00004214
	ds_write_b64 v20, v[70:71] offset:6528                     // 000000005888: D89A1980 00004614
	s_waitcnt lgkmcnt(0)                                       // 000000005890: BF8CC07F
	s_barrier                                                  // 000000005894: BF8A0000
	ds_read_b32 v58, v21                                       // 000000005898: D86C0000 3A000015
	ds_read_b32 v59, v21 offset:64                             // 0000000058A0: D86C0040 3B000015
	ds_read_b32 v62, v21 offset:2176                           // 0000000058A8: D86C0880 3E000015
	ds_read_b32 v63, v21 offset:2240                           // 0000000058B0: D86C08C0 3F000015
	ds_read_b32 v66, v21 offset:4352                           // 0000000058B8: D86C1100 42000015
	ds_read_b32 v67, v21 offset:4416                           // 0000000058C0: D86C1140 43000015
	ds_read_b32 v70, v21 offset:6528                           // 0000000058C8: D86C1980 46000015
	ds_read_b32 v71, v21 offset:6592                           // 0000000058D0: D86C19C0 47000015
	s_waitcnt lgkmcnt(0)                                       // 0000000058D8: BF8CC07F
	v_mov_b32_e32 v7, 0                                        // 0000000058DC: 7E0E0280
	s_mov_b64 exec, s[36:37]                                   // 0000000058E0: BEFE0124
	v_mov_b32_e32 v6, v32                                      // 0000000058E4: 7E0C0320
	s_mov_b64 s[60:61], 0                                      // 0000000058E8: BEBC0180
	v_readlane_b32 s82, v3, 0                                  // 0000000058EC: D2890052 00010103
	s_and_b32 s82, s82, 0xffffff                               // 0000000058F4: 8652FF52 00FFFFFF
	s_cmp_lt_u32 s82, s66                                      // 0000000058FC: BF0A4252
	s_cselect_b32 s20, s36, s60                                // 000000005900: 85143C24
	v_readlane_b32 s82, v3, 1                                  // 000000005904: D2890052 00010303
	s_and_b32 s82, s82, 0xffffff                               // 00000000590C: 8652FF52 00FFFFFF
	s_cmp_lt_u32 s82, s66                                      // 000000005914: BF0A4252
	s_cselect_b32 s21, s36, s60                                // 000000005918: 85153C24
	s_mov_b64 exec, s[20:21]                                   // 00000000591C: BEFE0114
	global_atomic_add_f32 v6, v58, s[8:9] offset:8             // 000000005920: DD348008 00083A06
	global_atomic_add_f32 v6, v62, s[8:9] offset:264           // 000000005928: DD348108 00083E06
	global_atomic_add_f32 v6, v66, s[8:9] offset:520           // 000000005930: DD348208 00084206
	global_atomic_add_f32 v6, v70, s[8:9] offset:776           // 000000005938: DD348308 00084606
	s_mov_b64 exec, s[36:37]                                   // 000000005940: BEFE0124
	v_mov_b32_e32 v6, v33                                      // 000000005944: 7E0C0321
	s_mov_b64 s[60:61], 0                                      // 000000005948: BEBC0180
	v_readlane_b32 s82, v3, 2                                  // 00000000594C: D2890052 00010503
	s_and_b32 s82, s82, 0xffffff                               // 000000005954: 8652FF52 00FFFFFF
	s_cmp_lt_u32 s82, s66                                      // 00000000595C: BF0A4252
	s_cselect_b32 s20, s36, s60                                // 000000005960: 85143C24
	v_readlane_b32 s82, v3, 3                                  // 000000005964: D2890052 00010703
	s_and_b32 s82, s82, 0xffffff                               // 00000000596C: 8652FF52 00FFFFFF
	s_cmp_lt_u32 s82, s66                                      // 000000005974: BF0A4252
	s_cselect_b32 s21, s36, s60                                // 000000005978: 85153C24
	s_mov_b64 exec, s[20:21]                                   // 00000000597C: BEFE0114
	global_atomic_add_f32 v6, v59, s[8:9] offset:8             // 000000005980: DD348008 00083B06
	global_atomic_add_f32 v6, v63, s[8:9] offset:264           // 000000005988: DD348108 00083F06
	global_atomic_add_f32 v6, v67, s[8:9] offset:520           // 000000005990: DD348208 00084306
	global_atomic_add_f32 v6, v71, s[8:9] offset:776           // 000000005998: DD348308 00084706
	s_mov_b64 exec, s[36:37]                                   // 0000000059A0: BEFE0124
	s_branch label_0BED                                        // 0000000059A4: BF820000

00000000000059a8 <label_0BED>:
	s_waitcnt vmcnt(0) expcnt(0) lgkmcnt(0)                    // 0000000059A8: BF8C0000
	s_endpgm                                                   // 0000000059AC: BF810000
